;; amdgpu-corpus repo=ROCm/rocFFT kind=compiled arch=gfx950 opt=O3
	.text
	.amdgcn_target "amdgcn-amd-amdhsa--gfx950"
	.amdhsa_code_object_version 6
	.protected	fft_rtc_fwd_len578_factors_17_17_2_wgs_238_tpt_34_halfLds_sp_ip_CI_sbrr_dirReg ; -- Begin function fft_rtc_fwd_len578_factors_17_17_2_wgs_238_tpt_34_halfLds_sp_ip_CI_sbrr_dirReg
	.globl	fft_rtc_fwd_len578_factors_17_17_2_wgs_238_tpt_34_halfLds_sp_ip_CI_sbrr_dirReg
	.p2align	8
	.type	fft_rtc_fwd_len578_factors_17_17_2_wgs_238_tpt_34_halfLds_sp_ip_CI_sbrr_dirReg,@function
fft_rtc_fwd_len578_factors_17_17_2_wgs_238_tpt_34_halfLds_sp_ip_CI_sbrr_dirReg: ; @fft_rtc_fwd_len578_factors_17_17_2_wgs_238_tpt_34_halfLds_sp_ip_CI_sbrr_dirReg
; %bb.0:
	s_load_dwordx2 s[12:13], s[0:1], 0x18
	s_load_dwordx4 s[4:7], s[0:1], 0x0
	s_load_dwordx2 s[10:11], s[0:1], 0x50
	v_mul_u32_u24_e32 v1, 0x788, v0
	v_lshrrev_b32_e32 v2, 16, v1
	s_waitcnt lgkmcnt(0)
	s_load_dwordx2 s[8:9], s[12:13], 0x0
	v_mad_u64_u32 v[28:29], s[2:3], s2, 7, v[2:3]
	v_mov_b32_e32 v4, 0
	v_mov_b32_e32 v29, v4
	v_cmp_lt_u64_e64 s[2:3], s[6:7], 2
	s_and_b64 vcc, exec, s[2:3]
	v_mov_b64_e32 v[2:3], 0
	v_mov_b64_e32 v[8:9], v[28:29]
	s_cbranch_vccnz .LBB0_8
; %bb.1:
	s_load_dwordx2 s[2:3], s[0:1], 0x10
	s_add_u32 s14, s12, 8
	s_addc_u32 s15, s13, 0
	s_mov_b64 s[16:17], 1
	v_mov_b64_e32 v[2:3], 0
	s_waitcnt lgkmcnt(0)
	s_add_u32 s18, s2, 8
	s_addc_u32 s19, s3, 0
	v_mov_b64_e32 v[6:7], v[28:29]
.LBB0_2:                                ; =>This Inner Loop Header: Depth=1
	s_load_dwordx2 s[20:21], s[18:19], 0x0
                                        ; implicit-def: $vgpr8_vgpr9
	s_waitcnt lgkmcnt(0)
	v_or_b32_e32 v5, s21, v7
	v_cmp_ne_u64_e32 vcc, 0, v[4:5]
	s_and_saveexec_b64 s[2:3], vcc
	s_xor_b64 s[22:23], exec, s[2:3]
	s_cbranch_execz .LBB0_4
; %bb.3:                                ;   in Loop: Header=BB0_2 Depth=1
	v_cvt_f32_u32_e32 v1, s20
	v_cvt_f32_u32_e32 v5, s21
	s_sub_u32 s2, 0, s20
	s_subb_u32 s3, 0, s21
	v_fmac_f32_e32 v1, 0x4f800000, v5
	v_rcp_f32_e32 v1, v1
	s_nop 0
	v_mul_f32_e32 v1, 0x5f7ffffc, v1
	v_mul_f32_e32 v5, 0x2f800000, v1
	v_trunc_f32_e32 v5, v5
	v_fmac_f32_e32 v1, 0xcf800000, v5
	v_cvt_u32_f32_e32 v5, v5
	v_cvt_u32_f32_e32 v1, v1
	v_mul_lo_u32 v8, s2, v5
	v_mul_hi_u32 v10, s2, v1
	v_mul_lo_u32 v9, s3, v1
	v_add_u32_e32 v10, v10, v8
	v_mul_lo_u32 v12, s2, v1
	v_add_u32_e32 v13, v10, v9
	v_mul_hi_u32 v8, v1, v12
	v_mul_hi_u32 v11, v1, v13
	v_mul_lo_u32 v10, v1, v13
	v_mov_b32_e32 v9, v4
	v_lshl_add_u64 v[8:9], v[8:9], 0, v[10:11]
	v_mul_hi_u32 v11, v5, v12
	v_mul_lo_u32 v12, v5, v12
	v_add_co_u32_e32 v8, vcc, v8, v12
	v_mul_hi_u32 v10, v5, v13
	s_nop 0
	v_addc_co_u32_e32 v8, vcc, v9, v11, vcc
	v_mov_b32_e32 v9, v4
	s_nop 0
	v_addc_co_u32_e32 v11, vcc, 0, v10, vcc
	v_mul_lo_u32 v10, v5, v13
	v_lshl_add_u64 v[8:9], v[8:9], 0, v[10:11]
	v_add_co_u32_e32 v1, vcc, v1, v8
	v_mul_lo_u32 v10, s2, v1
	s_nop 0
	v_addc_co_u32_e32 v5, vcc, v5, v9, vcc
	v_mul_lo_u32 v8, s2, v5
	v_mul_hi_u32 v9, s2, v1
	v_add_u32_e32 v8, v9, v8
	v_mul_lo_u32 v9, s3, v1
	v_add_u32_e32 v12, v8, v9
	v_mul_hi_u32 v14, v5, v10
	v_mul_lo_u32 v15, v5, v10
	v_mul_hi_u32 v9, v1, v12
	v_mul_lo_u32 v8, v1, v12
	v_mul_hi_u32 v10, v1, v10
	v_mov_b32_e32 v11, v4
	v_lshl_add_u64 v[8:9], v[10:11], 0, v[8:9]
	v_add_co_u32_e32 v8, vcc, v8, v15
	v_mul_hi_u32 v13, v5, v12
	s_nop 0
	v_addc_co_u32_e32 v8, vcc, v9, v14, vcc
	v_mul_lo_u32 v10, v5, v12
	s_nop 0
	v_addc_co_u32_e32 v11, vcc, 0, v13, vcc
	v_mov_b32_e32 v9, v4
	v_lshl_add_u64 v[8:9], v[8:9], 0, v[10:11]
	v_add_co_u32_e32 v1, vcc, v1, v8
	v_mul_hi_u32 v10, v6, v1
	s_nop 0
	v_addc_co_u32_e32 v5, vcc, v5, v9, vcc
	v_mad_u64_u32 v[8:9], s[2:3], v6, v5, 0
	v_mov_b32_e32 v11, v4
	v_lshl_add_u64 v[8:9], v[10:11], 0, v[8:9]
	v_mad_u64_u32 v[12:13], s[2:3], v7, v1, 0
	v_add_co_u32_e32 v1, vcc, v8, v12
	v_mad_u64_u32 v[10:11], s[2:3], v7, v5, 0
	s_nop 0
	v_addc_co_u32_e32 v8, vcc, v9, v13, vcc
	v_mov_b32_e32 v9, v4
	s_nop 0
	v_addc_co_u32_e32 v11, vcc, 0, v11, vcc
	v_lshl_add_u64 v[8:9], v[8:9], 0, v[10:11]
	v_mul_lo_u32 v1, s21, v8
	v_mul_lo_u32 v5, s20, v9
	v_mad_u64_u32 v[10:11], s[2:3], s20, v8, 0
	v_add3_u32 v1, v11, v5, v1
	v_sub_u32_e32 v5, v7, v1
	v_mov_b32_e32 v11, s21
	v_sub_co_u32_e32 v14, vcc, v6, v10
	v_lshl_add_u64 v[12:13], v[8:9], 0, 1
	s_nop 0
	v_subb_co_u32_e64 v5, s[2:3], v5, v11, vcc
	v_subrev_co_u32_e64 v10, s[2:3], s20, v14
	v_subb_co_u32_e32 v1, vcc, v7, v1, vcc
	s_nop 0
	v_subbrev_co_u32_e64 v5, s[2:3], 0, v5, s[2:3]
	v_cmp_le_u32_e64 s[2:3], s21, v5
	v_cmp_le_u32_e32 vcc, s21, v1
	s_nop 0
	v_cndmask_b32_e64 v11, 0, -1, s[2:3]
	v_cmp_le_u32_e64 s[2:3], s20, v10
	s_nop 1
	v_cndmask_b32_e64 v10, 0, -1, s[2:3]
	v_cmp_eq_u32_e64 s[2:3], s21, v5
	s_nop 1
	v_cndmask_b32_e64 v5, v11, v10, s[2:3]
	v_lshl_add_u64 v[10:11], v[8:9], 0, 2
	v_cmp_ne_u32_e64 s[2:3], 0, v5
	s_nop 1
	v_cndmask_b32_e64 v5, v13, v11, s[2:3]
	v_cndmask_b32_e64 v11, 0, -1, vcc
	v_cmp_le_u32_e32 vcc, s20, v14
	s_nop 1
	v_cndmask_b32_e64 v13, 0, -1, vcc
	v_cmp_eq_u32_e32 vcc, s21, v1
	s_nop 1
	v_cndmask_b32_e32 v1, v11, v13, vcc
	v_cmp_ne_u32_e32 vcc, 0, v1
	v_cndmask_b32_e64 v1, v12, v10, s[2:3]
	s_nop 0
	v_cndmask_b32_e32 v9, v9, v5, vcc
	v_cndmask_b32_e32 v8, v8, v1, vcc
.LBB0_4:                                ;   in Loop: Header=BB0_2 Depth=1
	s_andn2_saveexec_b64 s[2:3], s[22:23]
	s_cbranch_execz .LBB0_6
; %bb.5:                                ;   in Loop: Header=BB0_2 Depth=1
	v_cvt_f32_u32_e32 v1, s20
	s_sub_i32 s22, 0, s20
	v_rcp_iflag_f32_e32 v1, v1
	s_nop 0
	v_mul_f32_e32 v1, 0x4f7ffffe, v1
	v_cvt_u32_f32_e32 v1, v1
	v_mul_lo_u32 v5, s22, v1
	v_mul_hi_u32 v5, v1, v5
	v_add_u32_e32 v1, v1, v5
	v_mul_hi_u32 v1, v6, v1
	v_mul_lo_u32 v5, v1, s20
	v_sub_u32_e32 v5, v6, v5
	v_add_u32_e32 v8, 1, v1
	v_subrev_u32_e32 v9, s20, v5
	v_cmp_le_u32_e32 vcc, s20, v5
	s_nop 1
	v_cndmask_b32_e32 v5, v5, v9, vcc
	v_cndmask_b32_e32 v1, v1, v8, vcc
	v_add_u32_e32 v8, 1, v1
	v_cmp_le_u32_e32 vcc, s20, v5
	v_mov_b32_e32 v9, v4
	s_nop 0
	v_cndmask_b32_e32 v8, v1, v8, vcc
.LBB0_6:                                ;   in Loop: Header=BB0_2 Depth=1
	s_or_b64 exec, exec, s[2:3]
	v_mad_u64_u32 v[10:11], s[2:3], v8, s20, 0
	s_load_dwordx2 s[2:3], s[14:15], 0x0
	v_mul_lo_u32 v1, v9, s20
	v_mul_lo_u32 v5, v8, s21
	v_add3_u32 v1, v11, v5, v1
	v_sub_co_u32_e32 v5, vcc, v6, v10
	s_add_u32 s16, s16, 1
	s_nop 0
	v_subb_co_u32_e32 v1, vcc, v7, v1, vcc
	s_addc_u32 s17, s17, 0
	s_waitcnt lgkmcnt(0)
	v_mul_lo_u32 v1, s2, v1
	v_mul_lo_u32 v6, s3, v5
	v_mad_u64_u32 v[2:3], s[2:3], s2, v5, v[2:3]
	s_add_u32 s14, s14, 8
	v_add3_u32 v3, v6, v3, v1
	s_addc_u32 s15, s15, 0
	v_mov_b64_e32 v[6:7], s[6:7]
	s_add_u32 s18, s18, 8
	v_cmp_ge_u64_e32 vcc, s[16:17], v[6:7]
	s_addc_u32 s19, s19, 0
	s_cbranch_vccnz .LBB0_8
; %bb.7:                                ;   in Loop: Header=BB0_2 Depth=1
	v_mov_b64_e32 v[6:7], v[8:9]
	s_branch .LBB0_2
.LBB0_8:
	s_lshl_b64 s[2:3], s[6:7], 3
	s_add_u32 s2, s12, s2
	s_addc_u32 s3, s13, s3
	s_load_dwordx2 s[6:7], s[2:3], 0x0
	s_load_dwordx2 s[12:13], s[0:1], 0x20
	s_mov_b32 s2, 0x7878788
                                        ; implicit-def: $vgpr48
                                        ; implicit-def: $vgpr46
                                        ; implicit-def: $vgpr42
                                        ; implicit-def: $vgpr38
                                        ; implicit-def: $vgpr40
                                        ; implicit-def: $vgpr44
                                        ; implicit-def: $vgpr36
                                        ; implicit-def: $vgpr33
	s_waitcnt lgkmcnt(0)
	v_mul_lo_u32 v1, s6, v9
	v_mul_lo_u32 v4, s7, v8
	v_mad_u64_u32 v[2:3], s[0:1], s6, v8, v[2:3]
	v_add3_u32 v3, v4, v3, v1
	v_mul_hi_u32 v1, v0, s2
	v_mul_u32_u24_e32 v1, 34, v1
	v_sub_u32_e32 v32, v0, v1
	v_cmp_gt_u64_e32 vcc, s[12:13], v[8:9]
	v_cmp_le_u64_e64 s[0:1], s[12:13], v[8:9]
	v_add_u32_e32 v154, 34, v32
                                        ; implicit-def: $sgpr2_sgpr3
	s_and_saveexec_b64 s[6:7], s[0:1]
	s_xor_b64 s[0:1], exec, s[6:7]
; %bb.9:
	v_add_u32_e32 v48, 34, v32
	v_add_u32_e32 v46, 0x44, v32
	;; [unrolled: 1-line block ×8, first 2 shown]
	s_mov_b64 s[2:3], 0
; %bb.10:
	s_or_saveexec_b64 s[0:1], s[0:1]
	v_mov_b64_e32 v[0:1], s[2:3]
	v_lshl_add_u64 v[34:35], v[2:3], 3, s[10:11]
                                        ; implicit-def: $vgpr22
                                        ; implicit-def: $vgpr30
                                        ; implicit-def: $vgpr50
                                        ; implicit-def: $vgpr52
                                        ; implicit-def: $vgpr24
                                        ; implicit-def: $vgpr26
                                        ; implicit-def: $vgpr2
                                        ; implicit-def: $vgpr8
                                        ; implicit-def: $vgpr4
                                        ; implicit-def: $vgpr18
                                        ; implicit-def: $vgpr12
                                        ; implicit-def: $vgpr20
                                        ; implicit-def: $vgpr14
                                        ; implicit-def: $vgpr16
                                        ; implicit-def: $vgpr6
                                        ; implicit-def: $vgpr10
	s_xor_b64 exec, exec, s[0:1]
	s_cbranch_execz .LBB0_12
; %bb.11:
	v_mad_u64_u32 v[0:1], s[2:3], s8, v32, 0
	v_mov_b32_e32 v2, v1
	v_mad_u64_u32 v[2:3], s[2:3], s9, v32, v[2:3]
	v_mov_b32_e32 v1, v2
	v_lshl_add_u64 v[2:3], v[0:1], 3, v[34:35]
	v_mad_u64_u32 v[0:1], s[2:3], s8, v154, 0
	v_mov_b32_e32 v4, v1
	v_mad_u64_u32 v[4:5], s[2:3], s9, v154, v[4:5]
	v_mov_b32_e32 v1, v4
	v_add_u32_e32 v46, 0x44, v32
	v_lshl_add_u64 v[4:5], v[0:1], 3, v[34:35]
	v_mad_u64_u32 v[0:1], s[2:3], s8, v46, 0
	v_mov_b32_e32 v6, v1
	v_mad_u64_u32 v[6:7], s[2:3], s9, v46, v[6:7]
	v_mov_b32_e32 v1, v6
	v_add_u32_e32 v42, 0x66, v32
	;; [unrolled: 6-line block ×3, first 2 shown]
	v_lshl_add_u64 v[8:9], v[0:1], 3, v[34:35]
	global_load_dwordx2 v[0:1], v[2:3], off
	global_load_dwordx2 v[22:23], v[4:5], off
	global_load_dwordx2 v[30:31], v[6:7], off
	global_load_dwordx2 v[50:51], v[8:9], off
	v_mad_u64_u32 v[2:3], s[2:3], s8, v38, 0
	v_mov_b32_e32 v4, v3
	v_mad_u64_u32 v[4:5], s[2:3], s9, v38, v[4:5]
	v_mov_b32_e32 v3, v4
	v_add_u32_e32 v40, 0xaa, v32
	v_lshl_add_u64 v[4:5], v[2:3], 3, v[34:35]
	v_mad_u64_u32 v[2:3], s[2:3], s8, v40, 0
	v_mov_b32_e32 v6, v3
	v_mad_u64_u32 v[6:7], s[2:3], s9, v40, v[6:7]
	v_mov_b32_e32 v3, v6
	v_add_u32_e32 v44, 0xcc, v32
	v_lshl_add_u64 v[6:7], v[2:3], 3, v[34:35]
	;; [unrolled: 6-line block ×4, first 2 shown]
	global_load_dwordx2 v[52:53], v[4:5], off
	global_load_dwordx2 v[24:25], v[6:7], off
	;; [unrolled: 1-line block ×4, first 2 shown]
	v_mad_u64_u32 v[4:5], s[2:3], s8, v33, 0
	v_mov_b32_e32 v6, v5
	v_mad_u64_u32 v[6:7], s[2:3], s9, v33, v[6:7]
	v_mov_b32_e32 v5, v6
	v_add_u32_e32 v7, 0x132, v32
	v_lshl_add_u64 v[12:13], v[4:5], 3, v[34:35]
	v_mad_u64_u32 v[4:5], s[2:3], s8, v7, 0
	v_mov_b32_e32 v6, v5
	v_mad_u64_u32 v[6:7], s[2:3], s9, v7, v[6:7]
	v_mov_b32_e32 v5, v6
	v_add_u32_e32 v7, 0x154, v32
	v_lshl_add_u64 v[14:15], v[4:5], 3, v[34:35]
	;; [unrolled: 6-line block ×3, first 2 shown]
	v_mad_u64_u32 v[4:5], s[2:3], s8, v7, 0
	v_mov_b32_e32 v6, v5
	v_mad_u64_u32 v[6:7], s[2:3], s9, v7, v[6:7]
	v_mov_b32_e32 v5, v6
	v_lshl_add_u64 v[18:19], v[4:5], 3, v[34:35]
	global_load_dwordx2 v[8:9], v[12:13], off
	global_load_dwordx2 v[10:11], v[14:15], off
	;; [unrolled: 1-line block ×4, first 2 shown]
	v_add_u32_e32 v15, 0x198, v32
	v_mad_u64_u32 v[12:13], s[2:3], s8, v15, 0
	v_mov_b32_e32 v14, v13
	v_mad_u64_u32 v[14:15], s[2:3], s9, v15, v[14:15]
	v_mov_b32_e32 v13, v14
	v_add_u32_e32 v15, 0x1ba, v32
	v_lshl_add_u64 v[20:21], v[12:13], 3, v[34:35]
	v_mad_u64_u32 v[12:13], s[2:3], s8, v15, 0
	v_mov_b32_e32 v14, v13
	v_mad_u64_u32 v[14:15], s[2:3], s9, v15, v[14:15]
	v_mov_b32_e32 v13, v14
	v_add_u32_e32 v15, 0x1dc, v32
	v_lshl_add_u64 v[48:49], v[12:13], 3, v[34:35]
	;; [unrolled: 6-line block ×4, first 2 shown]
	global_load_dwordx2 v[18:19], v[20:21], off
	global_load_dwordx2 v[16:17], v[48:49], off
	;; [unrolled: 1-line block ×4, first 2 shown]
	v_mad_u64_u32 v[20:21], s[2:3], s8, v29, 0
	v_mov_b32_e32 v48, v21
	v_mad_u64_u32 v[48:49], s[2:3], s9, v29, v[48:49]
	v_mov_b32_e32 v21, v48
	v_lshl_add_u64 v[20:21], v[20:21], 3, v[34:35]
	global_load_dwordx2 v[20:21], v[20:21], off
	v_mov_b32_e32 v48, v154
.LBB0_12:
	s_or_b64 exec, exec, s[0:1]
	s_mov_b32 s0, 0x24924925
	v_mul_hi_u32 v29, v28, s0
	v_sub_u32_e32 v37, v28, v29
	v_lshrrev_b32_e32 v37, 1, v37
	v_add_u32_e32 v29, v37, v29
	v_lshrrev_b32_e32 v29, 2, v29
	v_mul_lo_u32 v29, v29, 7
	v_sub_u32_e32 v37, v28, v29
	s_waitcnt vmcnt(15)
	v_add_f32_e32 v28, v22, v0
	s_waitcnt vmcnt(14)
	v_add_f32_e32 v28, v30, v28
	;; [unrolled: 2-line block ×5, first 2 shown]
	s_mov_b32 s11, 0xbf59a7d5
	s_mov_b32 s14, 0xbf1a4643
	s_waitcnt vmcnt(10)
	v_mov_b32_e32 v56, v26
	v_mov_b32_e32 v57, v22
	s_waitcnt vmcnt(0)
	v_mov_b32_e32 v55, v20
	s_mov_b32 s6, 0x3ee437d1
	s_mov_b32 s3, 0xbf06c442
	;; [unrolled: 1-line block ×4, first 2 shown]
	v_pk_add_f32 v[54:55], v[56:57], v[54:55]
	s_mov_b32 s34, s14
	s_mov_b32 s35, s11
	v_pk_add_f32 v[28:29], v[22:23], v[20:21] neg_lo:[0,1] neg_hi:[0,1]
	s_mov_b32 s7, 0xbf65296c
	s_mov_b32 s13, 0xbf763a35
	;; [unrolled: 1-line block ×8, first 2 shown]
	v_pk_mul_f32 v[66:67], v[54:55], s[34:35] op_sel:[1,0]
	v_pk_add_f32 v[68:69], v[30:31], v[14:15]
	s_mov_b32 s19, 0x3f6eb680
	s_mov_b32 s16, 0x3dbcf732
	s_mov_b32 s70, s29
	s_mov_b32 s71, s0
	v_pk_fma_f32 v[56:57], v[28:29], s[68:69], v[66:67] op_sel:[1,0,0]
	v_pk_add_f32 v[82:83], v[30:31], v[14:15] neg_lo:[0,1] neg_hi:[0,1]
	v_pk_mul_f32 v[102:103], v[68:69], s[30:31] op_sel_hi:[0,1]
	s_mov_b32 s27, 0xbeb8f4ab
	s_mov_b32 s17, 0xbf7ee86f
	;; [unrolled: 1-line block ×4, first 2 shown]
	v_pk_add_f32 v[70:71], v[50:51], v[12:13]
	v_pk_add_f32 v[56:57], v[56:57], v[0:1] op_sel_hi:[1,0]
	v_pk_fma_f32 v[58:59], v[82:83], s[70:71], v[102:103] op_sel:[1,0,0]
	s_mov_b32 s72, s27
	s_mov_b32 s73, s17
	v_pk_add_f32 v[86:87], v[50:51], v[12:13] neg_lo:[0,1] neg_hi:[0,1]
	v_pk_mul_f32 v[104:105], v[70:71], s[36:37] op_sel_hi:[0,1]
	s_mov_b32 s60, 0x3f4c4adb
	s_mov_b32 s38, s11
	;; [unrolled: 1-line block ×3, first 2 shown]
	v_pk_add_f32 v[72:73], v[52:53], v[16:17]
	v_pk_add_f32 v[56:57], v[58:59], v[56:57]
	v_pk_fma_f32 v[58:59], v[86:87], s[72:73], v[104:105] op_sel:[1,0,0]
	s_mov_b32 s78, s3
	s_mov_b32 s79, s60
	v_pk_add_f32 v[88:89], v[52:53], v[16:17] neg_lo:[0,1] neg_hi:[0,1]
	v_pk_mul_f32 v[106:107], v[72:73], s[38:39] op_sel_hi:[0,1]
	s_mov_b32 s65, 0x3f7ee86f
	s_mov_b32 s40, s16
	;; [unrolled: 1-line block ×3, first 2 shown]
	v_pk_add_f32 v[74:75], v[24:25], v[18:19]
	s_mov_b32 s22, 0xbf7ba420
	s_mov_b32 s20, 0x3f3d2fb0
	v_pk_add_f32 v[56:57], v[58:59], v[56:57]
	v_pk_fma_f32 v[58:59], v[88:89], s[78:79], v[106:107] op_sel:[1,0,0]
	s_mov_b32 s90, s65
	s_mov_b32 s91, s27
	v_pk_add_f32 v[90:91], v[24:25], v[18:19] neg_lo:[0,1] neg_hi:[0,1]
	v_pk_mul_f32 v[108:109], v[74:75], s[40:41] op_sel_hi:[0,1]
	s_mov_b32 s23, 0xbe3c28d5
	s_mov_b32 s21, 0xbf2c7751
	;; [unrolled: 1-line block ×4, first 2 shown]
	v_pk_add_f32 v[76:77], v[26:27], v[6:7]
	v_pk_add_f32 v[56:57], v[58:59], v[56:57]
	v_pk_fma_f32 v[58:59], v[90:91], s[90:91], v[108:109] op_sel:[1,0,0]
	s_mov_b32 s92, s21
	s_mov_b32 s93, s23
	v_pk_add_f32 v[92:93], v[26:27], v[6:7] neg_lo:[0,1] neg_hi:[0,1]
	v_pk_mul_f32 v[110:111], v[76:77], s[42:43] op_sel_hi:[0,1]
	s_mov_b32 s2, 0x3f2c7751
	s_mov_b32 s44, s22
	;; [unrolled: 1-line block ×3, first 2 shown]
	v_pk_add_f32 v[78:79], v[2:3], v[4:5]
	v_pk_add_f32 v[56:57], v[58:59], v[56:57]
	v_pk_fma_f32 v[58:59], v[92:93], s[92:93], v[110:111] op_sel:[1,0,0]
	s_mov_b32 s74, s23
	s_mov_b32 s75, s2
	v_pk_add_f32 v[94:95], v[2:3], v[4:5] neg_lo:[0,1] neg_hi:[0,1]
	v_pk_mul_f32 v[112:113], v[78:79], s[44:45] op_sel_hi:[0,1]
	s_mov_b32 s46, s6
	s_mov_b32 s47, s12
	v_pk_add_f32 v[80:81], v[8:9], v[10:11]
	v_mul_u32_u24_e32 v22, 0x242, v37
	v_pk_add_f32 v[56:57], v[58:59], v[56:57]
	v_pk_fma_f32 v[58:59], v[94:95], s[74:75], v[112:113] op_sel:[1,0,0]
	s_mov_b32 s86, s0
	s_mov_b32 s87, s13
	v_pk_add_f32 v[84:85], v[8:9], v[10:11] neg_lo:[0,1] neg_hi:[0,1]
	v_pk_mul_f32 v[118:119], v[80:81], s[46:47] op_sel_hi:[0,1]
	v_lshlrev_b32_e32 v37, 2, v22
	v_pk_add_f32 v[56:57], v[58:59], v[56:57]
	v_pk_fma_f32 v[58:59], v[84:85], s[86:87], v[118:119] op_sel:[1,0,0]
	s_movk_i32 s1, 0x44
	v_add_u32_e32 v26, 0, v37
	v_pk_add_f32 v[56:57], v[58:59], v[56:57]
	v_mad_u32_u24 v24, v32, s1, v26
	s_mov_b32 s48, s16
	s_mov_b32 s49, s12
	ds_write2_b32 v24, v57, v56 offset0:10 offset1:11
	s_mov_b32 s50, 0x3f06c442
	s_mov_b32 s62, s17
	;; [unrolled: 1-line block ×5, first 2 shown]
	v_pk_mul_f32 v[56:57], v[54:55], s[48:49] op_sel:[1,0]
	s_mov_b32 s66, s23
	s_mov_b32 s67, s50
	v_pk_fma_f32 v[58:59], v[28:29], s[62:63], v[56:57] op_sel:[1,0,0]
	v_pk_mul_f32 v[64:65], v[68:69], s[24:25] op_sel_hi:[0,1]
	s_mov_b32 s52, s12
	s_mov_b32 s53, s20
	v_pk_add_f32 v[58:59], v[58:59], v[0:1] op_sel_hi:[1,0]
	v_pk_fma_f32 v[60:61], v[82:83], s[66:67], v[64:65] op_sel:[1,0,0]
	s_mov_b32 s88, s29
	s_mov_b32 s89, s2
	v_pk_mul_f32 v[136:137], v[70:71], s[52:53] op_sel_hi:[0,1]
	v_pk_add_f32 v[58:59], v[60:61], v[58:59]
	v_pk_fma_f32 v[60:61], v[86:87], s[88:89], v[136:137] op_sel:[1,0,0]
	s_mov_b32 s58, 0x3eb8f4ab
	s_mov_b32 s54, s19
	;; [unrolled: 1-line block ×3, first 2 shown]
	v_pk_add_f32 v[58:59], v[60:61], v[58:59]
	s_mov_b32 s84, s58
	s_mov_b32 s85, s7
	v_pk_mul_f32 v[60:61], v[72:73], s[54:55] op_sel_hi:[0,1]
	v_pk_fma_f32 v[62:63], v[88:89], s[84:85], v[60:61] op_sel:[1,0,0]
	s_mov_b32 s56, s6
	s_mov_b32 s57, s22
	v_pk_add_f32 v[62:63], v[62:63], v[58:59]
	s_mov_b32 s80, s7
	s_mov_b32 s81, s23
	v_pk_mul_f32 v[58:59], v[74:75], s[56:57] op_sel_hi:[0,1]
	v_pk_fma_f32 v[96:97], v[90:91], s[80:81], v[58:59] op_sel:[1,0,0]
	v_pk_fma_f32 v[56:57], v[28:29], s[62:63], v[56:57] op_sel:[1,0,0] neg_lo:[1,0,0] neg_hi:[1,0,0]
	v_pk_add_f32 v[98:99], v[96:97], v[62:63]
	v_pk_mul_f32 v[96:97], v[28:29], s[62:63] op_sel_hi:[0,1]
	s_mov_b32 s62, s11
	s_mov_b32 s63, s16
	s_mov_b32 s64, s3
	v_pk_mul_f32 v[62:63], v[76:77], s[62:63] op_sel_hi:[0,1]
	v_pk_fma_f32 v[100:101], v[92:93], s[64:65], v[62:63] op_sel:[1,0,0]
	v_pk_fma_f32 v[120:121], v[82:83], s[66:67], v[64:65] op_sel:[1,0,0] neg_lo:[1,0,0] neg_hi:[1,0,0]
	v_pk_add_f32 v[100:101], v[100:101], v[98:99]
	v_pk_mul_f32 v[98:99], v[82:83], s[66:67] op_sel_hi:[0,1]
	s_mov_b32 s66, s14
	s_mov_b32 s67, s19
	s_mov_b32 s61, s27
	v_pk_mul_f32 v[64:65], v[78:79], s[66:67] op_sel_hi:[0,1]
	v_pk_fma_f32 v[114:115], v[94:95], s[60:61], v[64:65] op_sel:[1,0,0]
	v_pk_fma_f32 v[66:67], v[28:29], s[68:69], v[66:67] op_sel:[1,0,0] neg_lo:[1,0,0] neg_hi:[1,0,0]
	v_pk_add_f32 v[114:115], v[114:115], v[100:101]
	v_pk_mul_f32 v[100:101], v[28:29], s[68:69] op_sel_hi:[0,1]
	s_mov_b32 s68, s20
	s_mov_b32 s69, s14
	s_mov_b32 s82, s2
	;; [unrolled: 1-line block ×3, first 2 shown]
	v_pk_mul_f32 v[124:125], v[80:81], s[68:69] op_sel_hi:[0,1]
	v_pk_fma_f32 v[116:117], v[84:85], s[82:83], v[124:125] op_sel:[1,0,0]
	s_mov_b32 s10, s20
	v_pk_add_f32 v[114:115], v[116:117], v[114:115]
	v_mov_b32_e32 v116, v88
	v_mov_b32_e32 v117, v86
	ds_write2_b32 v24, v115, v114 offset0:12 offset1:13
	v_mov_b32_e32 v114, v73
	v_mov_b32_e32 v115, v71
	v_pk_mul_f32 v[126:127], v[116:117], s[2:3]
	s_mov_b32 s76, s21
	v_pk_fma_f32 v[116:117], v[114:115], s[10:11], v[126:127]
	v_pk_fma_f32 v[114:115], v[114:115], s[10:11], v[126:127] neg_lo:[0,0,1] neg_hi:[0,0,1]
	v_pk_fma_f32 v[126:127], v[86:87], s[72:73], v[104:105] op_sel:[1,0,0] neg_lo:[1,0,0] neg_hi:[1,0,0]
	v_pk_mul_f32 v[104:105], v[86:87], s[72:73] op_sel_hi:[0,1]
	s_mov_b32 s72, s20
	s_mov_b32 s73, s6
	;; [unrolled: 1-line block ×3, first 2 shown]
	v_pk_mul_f32 v[138:139], v[54:55], s[72:73] op_sel:[1,0]
	v_pk_fma_f32 v[122:123], v[82:83], s[70:71], v[102:103] op_sel:[1,0,0] neg_lo:[1,0,0] neg_hi:[1,0,0]
	v_pk_mul_f32 v[102:103], v[82:83], s[70:71] op_sel_hi:[0,1]
	s_mov_b32 s70, s16
	s_mov_b32 s71, s14
	v_pk_fma_f32 v[134:135], v[28:29], s[76:77], v[138:139] op_sel:[1,0,0]
	v_pk_fma_f32 v[128:129], v[88:89], s[78:79], v[106:107] op_sel:[1,0,0] neg_lo:[1,0,0] neg_hi:[1,0,0]
	v_pk_mul_f32 v[106:107], v[88:89], s[78:79] op_sel_hi:[0,1]
	s_mov_b32 s78, s17
	s_mov_b32 s79, s15
	v_pk_add_f32 v[144:145], v[134:135], v[0:1] op_sel_hi:[1,0]
	v_pk_mul_f32 v[140:141], v[68:69], s[70:71] op_sel_hi:[0,1]
	v_pk_fma_f32 v[134:135], v[94:95], s[74:75], v[112:113] op_sel:[1,0,0] neg_lo:[1,0,0] neg_hi:[1,0,0]
	v_pk_mul_f32 v[112:113], v[94:95], s[74:75] op_sel_hi:[0,1]
	s_mov_b32 s74, s14
	s_mov_b32 s75, s22
	v_pk_fma_f32 v[148:149], v[82:83], s[78:79], v[140:141] op_sel:[1,0,0]
	v_pk_fma_f32 v[142:143], v[84:85], s[86:87], v[118:119] op_sel:[1,0,0] neg_lo:[1,0,0] neg_hi:[1,0,0]
	v_pk_mul_f32 v[118:119], v[84:85], s[86:87] op_sel_hi:[0,1]
	s_mov_b32 s87, 0x3e3c28d5
	s_mov_b32 s86, s15
	v_pk_mul_f32 v[146:147], v[70:71], s[74:75] op_sel_hi:[0,1]
	v_pk_fma_f32 v[150:151], v[86:87], s[88:89], v[136:137] op_sel:[1,0,0] neg_lo:[1,0,0] neg_hi:[1,0,0]
	v_pk_mul_f32 v[136:137], v[86:87], s[88:89] op_sel_hi:[0,1]
	s_mov_b32 s88, s22
	s_mov_b32 s89, s12
	v_pk_fma_f32 v[130:131], v[90:91], s[90:91], v[108:109] op_sel:[1,0,0] neg_lo:[1,0,0] neg_hi:[1,0,0]
	v_pk_mul_f32 v[108:109], v[90:91], s[90:91] op_sel_hi:[0,1]
	v_pk_fma_f32 v[152:153], v[86:87], s[86:87], v[146:147] op_sel:[1,0,0]
	s_mov_b32 s28, s23
	v_pk_mul_f32 v[156:157], v[72:73], s[88:89] op_sel_hi:[0,1]
	s_mov_b32 s90, s11
	s_mov_b32 s91, s20
	v_pk_add_f32 v[144:145], v[148:149], v[144:145]
	v_pk_fma_f32 v[158:159], v[88:89], s[28:29], v[156:157] op_sel:[1,0,0]
	v_pk_mul_f32 v[160:161], v[74:75], s[90:91] op_sel_hi:[0,1]
	s_mov_b32 s51, s2
	v_pk_add_f32 v[144:145], v[152:153], v[144:145]
	s_mov_b32 s18, s12
	v_pk_fma_f32 v[148:149], v[90:91], s[50:51], v[160:161] op_sel:[1,0,0]
	v_pk_mul_f32 v[162:163], v[76:77], s[18:19] op_sel_hi:[0,1]
	v_pk_add_f32 v[144:145], v[158:159], v[144:145]
	s_mov_b32 s26, s29
	v_pk_fma_f32 v[152:153], v[92:93], s[26:27], v[162:163] op_sel:[1,0,0]
	v_pk_add_f32 v[144:145], v[148:149], v[144:145]
	v_add_f32_e32 v22, v23, v1
	v_mov_b32_e32 v148, v92
	v_pk_add_f32 v[152:153], v[152:153], v[144:145]
	v_mov_b32_e32 v149, v90
	s_mov_b32 s1, s15
	v_pk_fma_f32 v[60:61], v[88:89], s[84:85], v[60:61] op_sel:[1,0,0] neg_lo:[1,0,0] neg_hi:[1,0,0]
	v_pk_mul_f32 v[144:145], v[88:89], s[84:85] op_sel_hi:[0,1]
	s_mov_b32 s84, s6
	s_mov_b32 s85, s16
	v_add_f32_e32 v22, v31, v22
	v_pk_mul_f32 v[148:149], v[148:149], s[0:1]
	s_mov_b32 s1, s17
	v_pk_mul_f32 v[158:159], v[78:79], s[84:85] op_sel_hi:[0,1]
	v_add_f32_e32 v22, v51, v22
	v_mov_b32_e32 v30, v68
	v_mov_b32_e32 v31, v83
	v_pk_fma_f32 v[164:165], v[94:95], s[0:1], v[158:159] op_sel:[1,0,0]
	s_mov_b32 s10, s19
	v_add_f32_e32 v41, v53, v22
	v_pk_mul_f32 v[52:53], v[30:31], s[20:21]
	v_pk_add_f32 v[152:153], v[164:165], v[152:153]
	s_mov_b32 s59, s3
	v_pk_mul_f32 v[164:165], v[80:81], s[10:11] op_sel_hi:[0,1]
	v_mov_b32_e32 v39, v52
	v_pk_fma_f32 v[166:167], v[84:85], s[58:59], v[164:165] op_sel:[1,0,0]
	v_pk_fma_f32 v[50:51], v[30:31], s[20:21], v[38:39] neg_lo:[1,0,0] neg_hi:[1,0,0]
	v_mov_b32_e32 v30, v70
	v_mov_b32_e32 v31, v87
	v_pk_add_f32 v[152:153], v[166:167], v[152:153]
	v_pk_mul_f32 v[166:167], v[30:31], s[6:7]
	ds_write2_b32 v24, v153, v152 offset0:14 offset1:15
	v_mov_b32_e32 v39, v166
	v_pk_fma_f32 v[168:169], v[30:31], s[6:7], v[38:39] neg_lo:[1,0,0] neg_hi:[1,0,0]
	v_mov_b32_e32 v30, v72
	v_mov_b32_e32 v31, v89
	v_pk_mul_f32 v[170:171], v[30:31], s[16:17]
	v_mov_b32_e32 v152, v78
	v_mov_b32_e32 v39, v170
	v_pk_fma_f32 v[172:173], v[30:31], s[16:17], v[38:39] neg_lo:[1,0,0] neg_hi:[1,0,0]
	v_mov_b32_e32 v30, v74
	v_mov_b32_e32 v31, v91
	v_pk_mul_f32 v[174:175], v[30:31], s[12:13]
	v_mov_b32_e32 v153, v95
	v_mov_b32_e32 v39, v174
	v_pk_fma_f32 v[176:177], v[30:31], s[12:13], v[38:39] neg_lo:[1,0,0] neg_hi:[1,0,0]
	v_mov_b32_e32 v30, v76
	v_mov_b32_e32 v31, v93
	v_pk_mul_f32 v[178:179], v[30:31], s[14:15]
	v_pk_fma_f32 v[58:59], v[90:91], s[80:81], v[58:59] op_sel:[1,0,0] neg_lo:[1,0,0] neg_hi:[1,0,0]
	v_mov_b32_e32 v39, v178
	v_pk_fma_f32 v[180:181], v[30:31], s[14:15], v[38:39] neg_lo:[1,0,0] neg_hi:[1,0,0]
	v_pk_mul_f32 v[30:31], v[90:91], s[80:81] op_sel_hi:[0,1]
	s_mov_b32 s80, s11
	s_mov_b32 s81, s3
	v_pk_mul_f32 v[182:183], v[152:153], s[80:81]
	v_mul_f32_e32 v191, 0xbeb8f4ab, v29
	v_mov_b32_e32 v39, v182
	v_pk_fma_f32 v[184:185], v[152:153], s[80:81], v[38:39] neg_lo:[1,0,0] neg_hi:[1,0,0]
	v_mov_b32_e32 v152, v80
	v_mov_b32_e32 v153, v85
	v_pk_mul_f32 v[186:187], v[152:153], s[22:23]
	v_mov_b32_e32 v190, v8
	v_mov_b32_e32 v39, v186
	v_pk_fma_f32 v[188:189], v[152:153], s[22:23], v[38:39] neg_lo:[1,0,0] neg_hi:[1,0,0]
	v_mov_b32_e32 v153, 0x3f6eb680
	v_mov_b32_e32 v152, v2
	v_pk_add_f32 v[192:193], v[2:3], v[54:55]
	v_pk_fma_f32 v[190:191], v[152:153], v[54:55], v[190:191] neg_lo:[0,0,1] neg_hi:[0,0,1]
	v_pk_add_f32 v[192:193], v[192:193], v[8:9]
	v_mov_b32_e32 v190, v10
	v_mov_b32_e32 v193, v191
	;; [unrolled: 1-line block ×3, first 2 shown]
	v_pk_add_f32 v[190:191], v[190:191], v[192:193]
	v_mov_b32_e32 v50, v4
	v_pk_add_f32 v[50:51], v[50:51], v[190:191]
	v_mov_b32_e32 v168, v6
	v_pk_add_f32 v[50:51], v[168:169], v[50:51]
	v_mov_b32_e32 v172, v18
	v_pk_add_f32 v[50:51], v[172:173], v[50:51]
	v_mov_b32_e32 v176, v16
	v_pk_add_f32 v[50:51], v[176:177], v[50:51]
	v_mov_b32_e32 v180, v12
	v_pk_add_f32 v[50:51], v[180:181], v[50:51]
	v_mov_b32_e32 v184, v14
	v_pk_add_f32 v[50:51], v[184:185], v[50:51]
	v_mov_b32_e32 v188, v20
	v_pk_add_f32 v[50:51], v[188:189], v[50:51]
	v_pk_fma_f32 v[138:139], v[28:29], s[76:77], v[138:139] op_sel:[1,0,0] neg_lo:[1,0,0] neg_hi:[1,0,0]
	ds_write2_b32 v24, v50, v51 offset1:1
	v_pk_fma_f32 v[50:51], v[82:83], s[78:79], v[140:141] op_sel:[1,0,0] neg_lo:[1,0,0] neg_hi:[1,0,0]
	v_pk_add_f32 v[138:139], v[138:139], v[0:1] op_sel_hi:[1,0]
	v_pk_fma_f32 v[62:63], v[92:93], s[64:65], v[62:63] op_sel:[1,0,0] neg_lo:[1,0,0] neg_hi:[1,0,0]
	v_pk_add_f32 v[50:51], v[50:51], v[138:139]
	v_pk_fma_f32 v[138:139], v[86:87], s[86:87], v[146:147] op_sel:[1,0,0] neg_lo:[1,0,0] neg_hi:[1,0,0]
	v_pk_fma_f32 v[132:133], v[92:93], s[92:93], v[110:111] op_sel:[1,0,0] neg_lo:[1,0,0] neg_hi:[1,0,0]
	v_pk_add_f32 v[50:51], v[138:139], v[50:51]
	v_pk_fma_f32 v[138:139], v[88:89], s[28:29], v[156:157] op_sel:[1,0,0] neg_lo:[1,0,0] neg_hi:[1,0,0]
	v_mul_f32_e32 v2, 0x3f6eb680, v68
	v_pk_add_f32 v[50:51], v[138:139], v[50:51]
	v_pk_fma_f32 v[138:139], v[90:91], s[50:51], v[160:161] op_sel:[1,0,0] neg_lo:[1,0,0] neg_hi:[1,0,0]
	v_mul_f32_e32 v4, 0x3eb8f4ab, v83
	v_pk_add_f32 v[50:51], v[138:139], v[50:51]
	v_pk_fma_f32 v[138:139], v[92:93], s[26:27], v[162:163] op_sel:[1,0,0] neg_lo:[1,0,0] neg_hi:[1,0,0]
	v_mov_b32_e32 v22, v27
	v_pk_add_f32 v[50:51], v[138:139], v[50:51]
	v_pk_fma_f32 v[138:139], v[94:95], s[0:1], v[158:159] op_sel:[1,0,0] neg_lo:[1,0,0] neg_hi:[1,0,0]
	v_add_f32_e32 v6, v171, v170
	v_pk_add_f32 v[50:51], v[138:139], v[50:51]
	v_pk_fma_f32 v[138:139], v[84:85], s[58:59], v[164:165] op_sel:[1,0,0] neg_lo:[1,0,0] neg_hi:[1,0,0]
	v_add_f32_e32 v8, v175, v174
	v_pk_add_f32 v[50:51], v[138:139], v[50:51]
	ds_write2_b32 v24, v50, v51 offset0:2 offset1:3
	v_pk_add_f32 v[50:51], v[56:57], v[0:1] op_sel_hi:[1,0]
	v_add_f32_e32 v10, v179, v178
	v_pk_add_f32 v[56:57], v[120:121], v[50:51]
	v_add_f32_e32 v12, v183, v182
	v_pk_add_f32 v[56:57], v[150:151], v[56:57]
	v_pk_mul_f32 v[110:111], v[92:93], s[92:93] op_sel_hi:[0,1]
	v_pk_add_f32 v[56:57], v[60:61], v[56:57]
	v_add_f32_e32 v14, v187, v186
	v_pk_add_f32 v[56:57], v[58:59], v[56:57]
	v_pk_fma_f32 v[58:59], v[94:95], s[60:61], v[64:65] op_sel:[1,0,0] neg_lo:[1,0,0] neg_hi:[1,0,0]
	v_pk_add_f32 v[56:57], v[62:63], v[56:57]
	v_lshl_add_u32 v47, v48, 2, v26
	v_pk_add_f32 v[56:57], v[58:59], v[56:57]
	v_pk_fma_f32 v[58:59], v[84:85], s[82:83], v[124:125] op_sel:[1,0,0] neg_lo:[1,0,0] neg_hi:[1,0,0]
	v_lshl_add_u32 v49, v46, 2, v26
	v_pk_add_f32 v[56:57], v[58:59], v[56:57]
	ds_write2_b32 v24, v56, v57 offset0:4 offset1:5
	v_pk_add_f32 v[56:57], v[66:67], v[0:1] op_sel_hi:[1,0]
	v_pk_add_f32 v[58:59], v[2:3], v[4:5]
	v_pk_add_f32 v[56:57], v[122:123], v[56:57]
	v_lshl_add_u32 v43, v36, 2, v26
	v_pk_add_f32 v[56:57], v[126:127], v[56:57]
	v_lshl_add_u32 v39, v33, 2, v26
	v_pk_add_f32 v[56:57], v[128:129], v[56:57]
	v_pk_mul_f32 v[50:51], v[92:93], s[64:65] op_sel_hi:[0,1]
	v_pk_add_f32 v[56:57], v[130:131], v[56:57]
	v_mov_b32_e32 v160, v77
	v_pk_add_f32 v[56:57], v[132:133], v[56:57]
	v_mov_b32_e32 v161, v75
	;; [unrolled: 2-line block ×3, first 2 shown]
	v_pk_add_f32 v[56:57], v[142:143], v[56:57]
	ds_write2_b32 v24, v56, v57 offset0:6 offset1:7
	v_pk_add_f32 v[56:57], v[2:3], v[4:5] neg_lo:[0,1] neg_hi:[0,1]
	v_mul_f32_e32 v2, 0xbf59a7d5, v70
	v_mul_f32_e32 v4, 0xbf06c442, v87
	v_mov_b32_e32 v57, v58
	v_pk_add_f32 v[58:59], v[2:3], v[4:5] neg_lo:[0,1] neg_hi:[0,1]
	v_pk_add_f32 v[60:61], v[2:3], v[4:5]
	v_mul_f32_e32 v2, 0x3f3d2fb0, v72
	v_mul_f32_e32 v4, 0x3f2c7751, v89
	v_mov_b32_e32 v59, v60
	v_pk_add_f32 v[60:61], v[2:3], v[4:5] neg_lo:[0,1] neg_hi:[0,1]
	v_pk_add_f32 v[62:63], v[2:3], v[4:5]
	;; [unrolled: 5-line block ×7, first 2 shown]
	v_add_f32_e32 v2, v53, v52
	v_mov_b32_e32 v123, v124
	v_pk_add_f32 v[122:123], v[122:123], v[0:1] op_sel_hi:[1,0]
	v_pk_mul_f32 v[52:53], v[152:153], v[54:55]
	v_pk_add_f32 v[56:57], v[56:57], v[122:123]
	v_fmac_f32_e32 v53, 0xbeb8f4ab, v29
	v_pk_add_f32 v[56:57], v[58:59], v[56:57]
	v_add_f32_e32 v16, v53, v0
	v_pk_add_f32 v[56:57], v[60:61], v[56:57]
	v_add_f32_e32 v4, v167, v166
	;; [unrolled: 2-line block ×4, first 2 shown]
	v_pk_add_f32 v[56:57], v[66:67], v[56:57]
	v_pk_fma_f32 v[58:59], v[68:69], s[30:31], v[102:103] op_sel:[1,0,0] neg_lo:[0,0,1] neg_hi:[0,0,1]
	v_pk_add_f32 v[56:57], v[120:121], v[56:57]
	ds_write2_b32 v24, v56, v57 offset0:8 offset1:9
	v_add_f32_e32 v56, v25, v41
	v_mov_b32_e32 v57, v21
	v_pk_add_f32 v[22:23], v[22:23], v[56:57]
	v_add_f32_e32 v2, v6, v2
	v_pk_fma_f32 v[56:57], v[22:23], s[34:35], v[100:101] op_sel:[1,0,0] neg_lo:[0,0,1] neg_hi:[0,0,1]
	v_add_f32_e32 v2, v8, v2
	v_pk_add_f32 v[56:57], v[56:57], v[0:1] op_sel:[0,1]
	v_add_f32_e32 v2, v10, v2
	v_pk_add_f32 v[56:57], v[58:59], v[56:57]
	v_pk_fma_f32 v[58:59], v[70:71], s[36:37], v[104:105] op_sel:[1,0,0] neg_lo:[0,0,1] neg_hi:[0,0,1]
	v_add_f32_e32 v2, v12, v2
	v_pk_add_f32 v[56:57], v[58:59], v[56:57]
	v_pk_fma_f32 v[58:59], v[72:73], s[38:39], v[106:107] op_sel:[1,0,0] neg_lo:[0,0,1] neg_hi:[0,0,1]
	;; [unrolled: 3-line block ×3, first 2 shown]
	ds_write_b32 v24, v2 offset:64
	v_pk_add_f32 v[56:57], v[58:59], v[56:57]
	v_pk_fma_f32 v[58:59], v[76:77], s[42:43], v[110:111] op_sel:[1,0,0] neg_lo:[0,0,1] neg_hi:[0,0,1]
	v_lshlrev_b32_e32 v2, 2, v32
	v_pk_add_f32 v[56:57], v[58:59], v[56:57]
	v_pk_fma_f32 v[58:59], v[78:79], s[44:45], v[112:113] op_sel:[1,0,0] neg_lo:[0,0,1] neg_hi:[0,0,1]
	v_add3_u32 v41, 0, v2, v37
	v_pk_add_f32 v[56:57], v[58:59], v[56:57]
	v_pk_fma_f32 v[58:59], v[80:81], s[46:47], v[118:119] op_sel:[1,0,0] neg_lo:[0,0,1] neg_hi:[0,0,1]
	v_add_u32_e32 v45, v26, v2
	v_pk_add_f32 v[128:129], v[58:59], v[56:57]
	v_lshl_add_u32 v120, v42, 2, v26
	v_lshl_add_u32 v121, v38, 2, v26
	;; [unrolled: 1-line block ×4, first 2 shown]
	v_add_u32_e32 v125, 0x400, v41
	v_pk_fma_f32 v[26:27], v[22:23], s[48:49], v[96:97] op_sel:[1,0,0] neg_lo:[0,0,1] neg_hi:[0,0,1]
	s_waitcnt lgkmcnt(0)
	s_barrier
	ds_read_b32 v64, v49
	ds_read_b32 v63, v120
	;; [unrolled: 1-line block ×9, first 2 shown]
	v_add_u32_e32 v124, 0x600, v41
	ds_read2_b32 v[52:53], v125 offset0:50 offset1:84
	ds_read2_b32 v[56:57], v125 offset0:118 offset1:152
	;; [unrolled: 1-line block ×4, first 2 shown]
	s_waitcnt lgkmcnt(0)
	s_barrier
	ds_write2_b32 v24, v129, v128 offset0:10 offset1:11
	v_pk_add_f32 v[26:27], v[26:27], v[0:1] op_sel:[0,1]
	v_pk_fma_f32 v[128:129], v[68:69], s[24:25], v[98:99] op_sel:[1,0,0] neg_lo:[0,0,1] neg_hi:[0,0,1]
	v_mov_b32_e32 v135, v86
	v_pk_add_f32 v[26:27], v[128:129], v[26:27]
	v_pk_fma_f32 v[128:129], v[70:71], s[52:53], v[136:137] op_sel:[1,0,0] neg_lo:[0,0,1] neg_hi:[0,0,1]
	v_pk_mul_f32 v[138:139], v[134:135], s[6:7]
	v_pk_add_f32 v[26:27], v[128:129], v[26:27]
	v_pk_fma_f32 v[128:129], v[72:73], s[54:55], v[144:145] op_sel:[1,0,0] neg_lo:[0,0,1] neg_hi:[0,0,1]
	v_mov_b32_e32 v140, v73
	v_pk_add_f32 v[26:27], v[128:129], v[26:27]
	v_pk_fma_f32 v[128:129], v[74:75], s[56:57], v[30:31] op_sel:[1,0,0] neg_lo:[0,0,1] neg_hi:[0,0,1]
	v_mov_b32_e32 v141, v88
	;; [unrolled: 3-line block ×3, first 2 shown]
	v_pk_add_f32 v[26:27], v[128:129], v[26:27]
	v_pk_mul_f32 v[128:129], v[94:95], s[60:61] op_sel_hi:[0,1]
	v_pk_fma_f32 v[130:131], v[78:79], s[66:67], v[128:129] op_sel:[1,0,0] neg_lo:[0,0,1] neg_hi:[0,0,1]
	s_mov_b32 s60, s6
	v_pk_add_f32 v[26:27], v[130:131], v[26:27]
	v_pk_mul_f32 v[130:131], v[84:85], s[82:83] op_sel_hi:[0,1]
	v_pk_fma_f32 v[132:133], v[80:81], s[68:69], v[130:131] op_sel:[1,0,0] neg_lo:[0,0,1] neg_hi:[0,0,1]
	s_mov_b32 s61, s14
	v_pk_add_f32 v[26:27], v[132:133], v[26:27]
	ds_write2_b32 v24, v27, v26 offset0:12 offset1:13
	v_mov_b32_e32 v26, v69
	v_mov_b32_e32 v27, v82
	v_pk_fma_f32 v[162:163], v[160:161], s[60:61], v[148:149]
	v_pk_fma_f32 v[148:149], v[160:161], s[60:61], v[148:149] neg_lo:[0,0,1] neg_hi:[0,0,1]
	v_mov_b32_e32 v160, v79
	v_mov_b32_e32 v161, v94
	v_pk_mul_f32 v[132:133], v[26:27], s[20:21]
	v_pk_mul_f32 v[168:169], v[160:161], s[12:13]
	v_mov_b32_e32 v25, v132
	v_mov_b32_e32 v2, v169
	v_pk_fma_f32 v[26:27], v[26:27], s[20:21], v[24:25]
	v_mov_b32_e32 v25, v138
	v_pk_mul_f32 v[142:143], v[140:141], s[16:17]
	v_mov_b32_e32 v146, v75
	v_mov_b32_e32 v147, v90
	v_pk_fma_f32 v[170:171], v[160:161], s[12:13], v[2:3]
	v_mov_b32_e32 v2, v9
	v_pk_add_f32 v[8:9], v[152:153], v[22:23]
	v_pk_mul_f32 v[152:153], v[152:153], v[22:23]
	v_pk_fma_f32 v[134:135], v[134:135], s[6:7], v[24:25]
	v_mov_b32_e32 v25, v142
	v_pk_mul_f32 v[150:151], v[146:147], s[12:13]
	v_mov_b32_e32 v156, v77
	v_mov_b32_e32 v157, v92
	v_mul_f32_e32 v3, 0xbeb8f4ab, v28
	v_mov_b32_e32 v9, v153
	v_pk_fma_f32 v[140:141], v[140:141], s[16:17], v[24:25]
	v_mov_b32_e32 v25, v150
	v_pk_mul_f32 v[158:159], v[156:157], s[14:15]
	v_pk_add_f32 v[2:3], v[2:3], v[8:9]
	v_mov_b32_e32 v8, v11
	v_mov_b32_e32 v9, v1
	v_pk_fma_f32 v[146:147], v[146:147], s[12:13], v[24:25]
	v_mov_b32_e32 v25, v158
	v_pk_mul_f32 v[164:165], v[160:161], s[80:81]
	v_pk_add_f32 v[2:3], v[8:9], v[2:3]
	v_mov_b32_e32 v26, v5
	v_pk_fma_f32 v[156:157], v[156:157], s[14:15], v[24:25]
	v_mov_b32_e32 v25, v164
	v_pk_add_f32 v[2:3], v[26:27], v[2:3]
	v_mov_b32_e32 v134, v7
	v_pk_fma_f32 v[166:167], v[160:161], s[80:81], v[24:25]
	v_mov_b32_e32 v25, v168
	v_mov_b32_e32 v168, v81
	;; [unrolled: 1-line block ×5, first 2 shown]
	s_mov_b32 s60, s58
	s_mov_b32 s61, s23
	v_pk_add_f32 v[2:3], v[134:135], v[2:3]
	v_mov_b32_e32 v140, v19
	v_pk_mul_f32 v[172:173], v[168:169], s[22:23]
	v_pk_mul_f32 v[8:9], v[8:9], s[60:61]
	v_mov_b32_e32 v10, v69
	v_mov_b32_e32 v11, v23
	s_mov_b32 s60, s19
	s_mov_b32 s61, s22
	v_pk_add_f32 v[2:3], v[140:141], v[2:3]
	v_mov_b32_e32 v146, v17
	v_pk_fma_f32 v[160:161], v[160:161], s[12:13], v[24:25] neg_lo:[1,0,0] neg_hi:[1,0,0]
	v_mov_b32_e32 v25, v172
	v_pk_fma_f32 v[174:175], v[10:11], s[60:61], v[8:9]
	v_pk_add_f32 v[2:3], v[146:147], v[2:3]
	v_mov_b32_e32 v156, v13
	v_pk_fma_f32 v[168:169], v[168:169], s[22:23], v[24:25]
	v_pk_fma_f32 v[8:9], v[10:11], s[60:61], v[8:9] neg_lo:[0,0,1] neg_hi:[0,0,1]
	v_add_f32_e32 v4, v175, v1
	v_pk_add_f32 v[2:3], v[156:157], v[2:3]
	v_mov_b32_e32 v166, v15
	v_add_f32_e32 v4, v174, v4
	v_add_f32_e32 v5, v9, v1
	v_pk_add_f32 v[2:3], v[166:167], v[2:3]
	v_mov_b32_e32 v168, v21
	v_add_f32_e32 v5, v8, v5
	v_add_f32_e32 v4, v117, v4
	v_pk_add_f32 v[2:3], v[168:169], v[2:3]
	v_add_f32_e32 v25, v116, v4
	v_add_f32_e32 v4, v115, v5
	ds_write2_b32 v24, v2, v3 offset1:1
	v_pk_mul_f32 v[2:3], v[28:29], s[76:77] op_sel_hi:[0,1]
	v_add_f32_e32 v114, v114, v4
	v_pk_mul_f32 v[4:5], v[82:83], s[78:79] op_sel_hi:[0,1]
	v_pk_fma_f32 v[6:7], v[22:23], s[72:73], v[2:3] op_sel:[1,0,0]
	v_pk_fma_f32 v[8:9], v[68:69], s[70:71], v[4:5] op_sel:[1,0,0]
	v_pk_add_f32 v[6:7], v[6:7], v[0:1] op_sel:[0,1]
	v_fmac_f32_e32 v153, 0x3eb8f4ab, v28
	v_pk_add_f32 v[6:7], v[8:9], v[6:7]
	v_pk_mul_f32 v[8:9], v[86:87], s[86:87] op_sel_hi:[0,1]
	v_pk_fma_f32 v[10:11], v[70:71], s[74:75], v[8:9] op_sel:[1,0,0]
	v_pk_fma_f32 v[2:3], v[22:23], s[72:73], v[2:3] op_sel:[1,0,0] neg_lo:[0,0,1] neg_hi:[0,0,1]
	v_pk_add_f32 v[6:7], v[10:11], v[6:7]
	v_pk_mul_f32 v[10:11], v[88:89], s[28:29] op_sel_hi:[0,1]
	v_pk_fma_f32 v[12:13], v[72:73], s[88:89], v[10:11] op_sel:[1,0,0]
	v_pk_fma_f32 v[4:5], v[68:69], s[70:71], v[4:5] op_sel:[1,0,0] neg_lo:[0,0,1] neg_hi:[0,0,1]
	v_pk_add_f32 v[6:7], v[12:13], v[6:7]
	v_pk_mul_f32 v[12:13], v[90:91], s[50:51] op_sel_hi:[0,1]
	v_pk_fma_f32 v[14:15], v[74:75], s[90:91], v[12:13] op_sel:[1,0,0]
	s_mov_b32 s28, s17
	v_pk_add_f32 v[6:7], v[14:15], v[6:7]
	v_pk_mul_f32 v[14:15], v[92:93], s[26:27] op_sel_hi:[0,1]
	v_pk_fma_f32 v[16:17], v[76:77], s[18:19], v[14:15] op_sel:[1,0,0]
	s_mov_b32 s26, s21
	v_pk_add_f32 v[6:7], v[16:17], v[6:7]
	v_pk_mul_f32 v[16:17], v[94:95], s[0:1] op_sel_hi:[0,1]
	v_pk_fma_f32 v[18:19], v[78:79], s[84:85], v[16:17] op_sel:[1,0,0]
	v_cmp_gt_u32_e64 s[0:1], 17, v32
	v_pk_add_f32 v[6:7], v[18:19], v[6:7]
	v_pk_mul_f32 v[18:19], v[84:85], s[58:59] op_sel_hi:[0,1]
	v_pk_fma_f32 v[20:21], v[80:81], s[10:11], v[18:19] op_sel:[1,0,0]
	s_mov_b32 s29, s7
	v_pk_add_f32 v[6:7], v[20:21], v[6:7]
	v_pk_fma_f32 v[20:21], v[22:23], s[48:49], v[96:97] op_sel:[1,0,0]
	ds_write2_b32 v24, v6, v7 offset0:2 offset1:3
	v_pk_fma_f32 v[6:7], v[68:69], s[24:25], v[98:99] op_sel:[1,0,0]
	v_pk_add_f32 v[20:21], v[20:21], v[0:1] op_sel:[0,1]
	s_mov_b32 s2, s23
	v_pk_add_f32 v[6:7], v[6:7], v[20:21]
	v_pk_fma_f32 v[20:21], v[70:71], s[52:53], v[136:137] op_sel:[1,0,0]
	s_nop 0
	v_pk_add_f32 v[6:7], v[20:21], v[6:7]
	v_pk_fma_f32 v[20:21], v[72:73], s[54:55], v[144:145] op_sel:[1,0,0]
	s_nop 0
	;; [unrolled: 3-line block ×3, first 2 shown]
	v_pk_add_f32 v[6:7], v[20:21], v[6:7]
	v_pk_fma_f32 v[20:21], v[76:77], s[62:63], v[50:51] op_sel:[1,0,0]
	v_subrev_u32_e32 v50, 17, v32
	v_pk_add_f32 v[6:7], v[20:21], v[6:7]
	v_pk_fma_f32 v[20:21], v[78:79], s[66:67], v[128:129] op_sel:[1,0,0]
	v_cndmask_b32_e64 v51, v50, v32, s[0:1]
	v_pk_add_f32 v[6:7], v[20:21], v[6:7]
	v_pk_fma_f32 v[20:21], v[80:81], s[68:69], v[130:131] op_sel:[1,0,0]
	s_nop 0
	v_pk_add_f32 v[6:7], v[20:21], v[6:7]
	v_pk_fma_f32 v[20:21], v[22:23], s[34:35], v[100:101] op_sel:[1,0,0]
	ds_write2_b32 v24, v6, v7 offset0:4 offset1:5
	v_pk_fma_f32 v[6:7], v[68:69], s[30:31], v[102:103] op_sel:[1,0,0]
	v_pk_add_f32 v[20:21], v[20:21], v[0:1] op_sel:[0,1]
	s_nop 0
	v_pk_add_f32 v[6:7], v[6:7], v[20:21]
	v_pk_fma_f32 v[20:21], v[70:71], s[36:37], v[104:105] op_sel:[1,0,0]
	s_nop 0
	v_pk_add_f32 v[6:7], v[20:21], v[6:7]
	v_pk_fma_f32 v[20:21], v[72:73], s[38:39], v[106:107] op_sel:[1,0,0]
	;; [unrolled: 3-line block ×6, first 2 shown]
	s_nop 0
	v_pk_add_f32 v[6:7], v[20:21], v[6:7]
	ds_write2_b32 v24, v6, v7 offset0:6 offset1:7
	v_add_f32_e32 v6, v163, v25
	v_add_f32_e32 v6, v162, v6
	v_mul_f32_e32 v7, 0x3dbcf732, v81
	v_mul_f32_e32 v21, 0x3f7ee86f, v84
	v_mov_b32_e32 v20, v170
	v_pk_add_f32 v[26:27], v[6:7], v[170:171]
	v_pk_add_f32 v[28:29], v[6:7], v[20:21] neg_lo:[0,1] neg_hi:[0,1]
	v_add_f32_e32 v6, v149, v114
	v_mov_b32_e32 v27, v29
	v_add_f32_e32 v29, v148, v6
	v_mov_b32_e32 v28, v7
	v_mov_b32_e32 v160, v21
	v_pk_add_f32 v[6:7], v[28:29], v[160:161]
	v_mov_b32_e32 v84, v66
	v_pk_add_f32 v[6:7], v[6:7], v[26:27]
	ds_write2_b32 v24, v6, v7 offset0:8 offset1:9
	v_pk_fma_f32 v[6:7], v[70:71], s[74:75], v[8:9] op_sel:[1,0,0] neg_lo:[0,0,1] neg_hi:[0,0,1]
	v_pk_fma_f32 v[8:9], v[72:73], s[88:89], v[10:11] op_sel:[1,0,0] neg_lo:[0,0,1] neg_hi:[0,0,1]
	;; [unrolled: 1-line block ×6, first 2 shown]
	v_add_f32_e32 v18, v153, v1
	v_pk_add_f32 v[0:1], v[2:3], v[0:1] op_sel:[0,1]
	v_sub_f32_e32 v2, v132, v133
	v_pk_add_f32 v[0:1], v[4:5], v[0:1]
	v_sub_f32_e32 v3, v138, v139
	v_pk_add_f32 v[0:1], v[6:7], v[0:1]
	v_add_f32_e32 v2, v2, v18
	v_pk_add_f32 v[0:1], v[8:9], v[0:1]
	v_sub_f32_e32 v4, v142, v143
	v_add_f32_e32 v2, v3, v2
	v_sub_f32_e32 v5, v150, v151
	v_add_f32_e32 v2, v4, v2
	v_pk_add_f32 v[0:1], v[10:11], v[0:1]
	v_sub_f32_e32 v6, v158, v159
	v_add_f32_e32 v2, v5, v2
	v_pk_add_f32 v[0:1], v[12:13], v[0:1]
	v_sub_f32_e32 v7, v164, v165
	v_add_f32_e32 v2, v6, v2
	v_pk_add_f32 v[0:1], v[14:15], v[0:1]
	v_sub_f32_e32 v8, v172, v173
	v_add_f32_e32 v2, v7, v2
	v_pk_add_f32 v[0:1], v[16:17], v[0:1]
	v_add_f32_e32 v3, v8, v2
	ds_write2_b32 v24, v1, v0 offset0:14 offset1:15
	ds_write_b32 v24, v3 offset:64
	v_lshlrev_b32_e32 v0, 4, v51
	v_mov_b32_e32 v1, 0
	v_lshl_add_u64 v[68:69], v[0:1], 3, s[4:5]
	s_waitcnt lgkmcnt(0)
	s_barrier
	global_load_dwordx4 v[0:3], v[68:69], off
	global_load_dwordx4 v[4:7], v[68:69], off offset:112
	global_load_dwordx4 v[8:11], v[68:69], off offset:16
	;; [unrolled: 1-line block ×7, first 2 shown]
	s_mov_b32 s18, s20
	s_waitcnt vmcnt(7)
	v_mov_b32_e32 v69, v0
	v_mov_b32_e32 v0, v3
	;; [unrolled: 1-line block ×3, first 2 shown]
	ds_read_b32 v73, v47
	ds_read_b32 v72, v49
	;; [unrolled: 1-line block ×8, first 2 shown]
	s_waitcnt lgkmcnt(6)
	v_pk_mul_f32 v[74:75], v[72:73], v[0:1]
	v_pk_mul_f32 v[0:1], v[64:65], v[0:1]
	v_pk_fma_f32 v[74:75], v[64:65], v[68:69], v[74:75] neg_lo:[0,0,1] neg_hi:[0,0,1]
	ds_read2_b32 v[64:65], v124 offset0:126 offset1:160
	v_pk_fma_f32 v[76:77], v[72:73], v[68:69], v[0:1]
	s_waitcnt vmcnt(6)
	v_mov_b32_e32 v1, v6
	v_mov_b32_e32 v69, v6
	;; [unrolled: 1-line block ×4, first 2 shown]
	s_waitcnt lgkmcnt(0)
	v_pk_mul_f32 v[72:73], v[64:65], v[6:7]
	v_mov_b32_e32 v85, v65
	v_mov_b32_e32 v65, v67
	;; [unrolled: 1-line block ×4, first 2 shown]
	v_pk_mul_f32 v[4:5], v[64:65], v[4:5]
	v_pk_fma_f32 v[78:79], v[66:67], v[68:69], v[72:73] neg_lo:[0,0,1] neg_hi:[0,0,1]
	v_pk_fma_f32 v[64:65], v[84:85], v[0:1], v[4:5]
	s_waitcnt vmcnt(5)
	v_mov_b32_e32 v1, v8
	v_mov_b32_e32 v8, v11
	;; [unrolled: 1-line block ×3, first 2 shown]
	v_pk_mul_f32 v[4:5], v[70:71], v[8:9]
	v_pk_mul_f32 v[6:7], v[62:63], v[8:9]
	v_pk_fma_f32 v[68:69], v[62:63], v[0:1], v[4:5] neg_lo:[0,0,1] neg_hi:[0,0,1]
	ds_read2_b32 v[4:5], v125 offset0:186 offset1:220
	v_pk_fma_f32 v[70:71], v[70:71], v[0:1], v[6:7]
	s_waitcnt vmcnt(4)
	v_mov_b32_e32 v1, v14
	v_mov_b32_e32 v7, v14
	;; [unrolled: 1-line block ×4, first 2 shown]
	s_waitcnt lgkmcnt(0)
	v_pk_mul_f32 v[8:9], v[4:5], v[14:15]
	v_mov_b32_e32 v11, v5
	v_mov_b32_e32 v5, v61
	;; [unrolled: 1-line block ×4, first 2 shown]
	v_pk_mul_f32 v[4:5], v[4:5], v[12:13]
	v_mov_b32_e32 v10, v60
	v_pk_fma_f32 v[72:73], v[60:61], v[6:7], v[8:9] neg_lo:[0,0,1] neg_hi:[0,0,1]
	v_pk_fma_f32 v[60:61], v[10:11], v[0:1], v[4:5]
	s_waitcnt vmcnt(3)
	v_mov_b32_e32 v1, v16
	v_mov_b32_e32 v16, v19
	v_mov_b32_e32 v0, v18
	v_pk_mul_f32 v[4:5], v[80:81], v[16:17]
	v_pk_mul_f32 v[6:7], v[58:59], v[16:17]
	v_pk_fma_f32 v[58:59], v[58:59], v[0:1], v[4:5] neg_lo:[0,0,1] neg_hi:[0,0,1]
	ds_read2_b32 v[4:5], v125 offset0:118 offset1:152
	v_pk_fma_f32 v[62:63], v[80:81], v[0:1], v[6:7]
	s_waitcnt vmcnt(2)
	v_mov_b32_e32 v1, v22
	v_mov_b32_e32 v7, v22
	;; [unrolled: 1-line block ×3, first 2 shown]
	ds_read_b32 v2, v39
	v_mov_b32_e32 v0, v21
	s_waitcnt lgkmcnt(1)
	v_pk_mul_f32 v[8:9], v[4:5], v[22:23]
	v_mov_b32_e32 v11, v5
	v_mov_b32_e32 v5, v57
	;; [unrolled: 1-line block ×3, first 2 shown]
	v_pk_mul_f32 v[4:5], v[4:5], v[20:21]
	v_mov_b32_e32 v10, v56
	v_mov_b32_e32 v6, v20
	v_pk_fma_f32 v[22:23], v[10:11], v[0:1], v[4:5]
	s_waitcnt vmcnt(1)
	v_mov_b32_e32 v1, v24
	v_mov_b32_e32 v24, v27
	v_pk_fma_f32 v[66:67], v[56:57], v[6:7], v[8:9] neg_lo:[0,0,1] neg_hi:[0,0,1]
	v_mov_b32_e32 v0, v26
	v_pk_mul_f32 v[6:7], v[54:55], v[24:25]
	s_waitcnt lgkmcnt(0)
	v_pk_mul_f32 v[4:5], v[2:3], v[24:25]
	v_pk_fma_f32 v[26:27], v[2:3], v[0:1], v[6:7]
	ds_read2_b32 v[2:3], v125 offset0:50 offset1:84
	v_pk_fma_f32 v[24:25], v[54:55], v[0:1], v[4:5] neg_lo:[0,0,1] neg_hi:[0,0,1]
	s_waitcnt vmcnt(0)
	v_mov_b32_e32 v1, v30
	v_mov_b32_e32 v5, v30
	;; [unrolled: 1-line block ×4, first 2 shown]
	s_waitcnt lgkmcnt(0)
	v_pk_mul_f32 v[6:7], v[2:3], v[30:31]
	v_mov_b32_e32 v9, v3
	v_mov_b32_e32 v3, v53
	;; [unrolled: 1-line block ×3, first 2 shown]
	v_pk_mul_f32 v[2:3], v[2:3], v[28:29]
	v_mov_b32_e32 v8, v52
	v_mov_b32_e32 v4, v28
	v_pk_fma_f32 v[30:31], v[8:9], v[0:1], v[2:3]
	v_pk_add_f32 v[2:3], v[76:77], v[64:65] neg_lo:[0,1] neg_hi:[0,1]
	v_pk_fma_f32 v[28:29], v[52:53], v[4:5], v[6:7] neg_lo:[0,0,1] neg_hi:[0,0,1]
	v_pk_add_f32 v[0:1], v[74:75], v[78:79]
	v_pk_mul_f32 v[4:5], v[2:3], s[26:27]
	v_mul_f32_e32 v10, 0xbf2c7751, v3
	v_pk_fma_f32 v[6:7], v[0:1], s[18:19], v[4:5] neg_lo:[0,0,1] neg_hi:[0,0,1]
	v_pk_fma_f32 v[4:5], v[0:1], s[18:19], v[4:5]
	v_mul_f32_e32 v11, 0xbf65296c, v3
	v_add_f32_e32 v5, v126, v5
	v_mul_f32_e32 v12, 0xbf7ee86f, v3
	v_mul_f32_e32 v13, 0xbf763a35, v3
	;; [unrolled: 1-line block ×12, first 2 shown]
	v_pk_add_f32 v[2:3], v[70:71], v[60:61] neg_lo:[0,1] neg_hi:[0,1]
	v_add_f32_e32 v7, v126, v7
	v_add_f32_e32 v9, v4, v5
	v_fma_f32 v54, v1, s20, -v10
	v_fmac_f32_e32 v10, 0x3f3d2fb0, v1
	v_fma_f32 v55, v1, s6, -v11
	v_fmac_f32_e32 v11, 0x3ee437d1, v1
	;; [unrolled: 2-line block ×14, first 2 shown]
	s_mov_b32 s26, s16
	s_mov_b32 s27, s6
	v_pk_add_f32 v[0:1], v[68:69], v[72:73]
	v_pk_mul_f32 v[4:5], v[2:3], s[28:29]
	v_add_f32_e32 v8, v6, v7
	v_pk_fma_f32 v[6:7], v[0:1], s[26:27], v[4:5] neg_lo:[0,0,1] neg_hi:[0,0,1]
	v_pk_fma_f32 v[4:5], v[0:1], s[26:27], v[4:5]
	v_mul_f32_e32 v91, 0xbf4c4adb, v3
	v_add_f32_e32 v5, v5, v9
	v_mul_f32_e32 v92, 0x3e3c28d5, v3
	v_mul_f32_e32 v93, 0x3f763a35, v3
	;; [unrolled: 1-line block ×13, first 2 shown]
	s_mov_b32 s28, s15
	s_mov_b32 s29, s13
	v_pk_add_f32 v[2:3], v[62:63], v[22:23] neg_lo:[0,1] neg_hi:[0,1]
	v_add_f32_e32 v7, v7, v8
	v_add_f32_e32 v9, v4, v5
	v_fma_f32 v105, v1, s14, -v91
	v_fmac_f32_e32 v91, 0xbf1a4643, v1
	v_fma_f32 v106, v1, s22, -v92
	v_fmac_f32_e32 v92, 0xbf7ba420, v1
	;; [unrolled: 2-line block ×14, first 2 shown]
	s_mov_b32 s26, s14
	s_mov_b32 s27, s12
	v_pk_add_f32 v[0:1], v[58:59], v[66:67]
	v_pk_mul_f32 v[4:5], v[2:3], s[28:29]
	v_add_f32_e32 v8, v6, v7
	v_pk_fma_f32 v[6:7], v[0:1], s[26:27], v[4:5] neg_lo:[0,0,1] neg_hi:[0,0,1]
	v_pk_fma_f32 v[4:5], v[0:1], s[26:27], v[4:5]
	v_mul_f32_e32 v119, 0x3f06c442, v3
	v_add_f32_e32 v5, v5, v9
	v_mul_f32_e32 v127, 0x3f2c7751, v3
	v_mul_f32_e32 v128, 0xbf65296c, v3
	;; [unrolled: 1-line block ×13, first 2 shown]
	v_pk_add_f32 v[2:3], v[26:27], v[30:31] neg_lo:[0,1] neg_hi:[0,1]
	v_add_f32_e32 v7, v7, v8
	v_add_f32_e32 v9, v4, v5
	v_fma_f32 v140, v1, s11, -v119
	v_fmac_f32_e32 v119, 0xbf59a7d5, v1
	v_fma_f32 v141, v1, s20, -v127
	v_fmac_f32_e32 v127, 0x3f3d2fb0, v1
	;; [unrolled: 2-line block ×14, first 2 shown]
	v_pk_add_f32 v[0:1], v[24:25], v[28:29]
	v_pk_mul_f32 v[4:5], v[2:3], s[2:3]
	v_add_f32_e32 v8, v6, v7
	v_pk_fma_f32 v[6:7], v[0:1], s[24:25], v[4:5] neg_lo:[0,0,1] neg_hi:[0,0,1]
	v_mul_f32_e32 v155, 0x3f4c4adb, v3
	v_add_f32_e32 v7, v7, v8
	v_add_f32_e32 v6, v6, v7
	v_mul_f32_e32 v7, 0x3f65296c, v3
	v_mul_f32_e32 v8, 0xbf7ee86f, v3
	;; [unrolled: 1-line block ×13, first 2 shown]
	v_pk_fma_f32 v[4:5], v[0:1], s[24:25], v[4:5]
	v_fma_f32 v166, v1, s6, -v7
	v_fmac_f32_e32 v7, 0x3ee437d1, v1
	v_fma_f32 v167, v1, s16, -v8
	v_fmac_f32_e32 v8, 0x3dbcf732, v1
	;; [unrolled: 2-line block ×14, first 2 shown]
	v_mov_b32_e32 v0, 0x484
	v_cmp_lt_u32_e64 s[2:3], 16, v32
	v_lshlrev_b32_e32 v3, 2, v51
	s_nop 0
	v_cndmask_b32_e64 v0, 0, v0, s[2:3]
	v_add_u32_e32 v0, 0, v0
	v_add3_u32 v3, v0, v3, v37
	v_add_f32_e32 v0, v126, v75
	v_add_f32_e32 v0, v0, v74
	;; [unrolled: 1-line block ×16, first 2 shown]
	s_barrier
	ds_write2_b32 v3, v0, v6 offset1:17
	v_add_f32_e32 v0, v126, v54
	v_add_f32_e32 v6, v126, v55
	v_add_f32_e32 v0, v84, v0
	v_add_f32_e32 v6, v85, v6
	v_add_f32_e32 v0, v105, v0
	v_add_f32_e32 v6, v106, v6
	v_add_f32_e32 v0, v112, v0
	v_add_f32_e32 v6, v113, v6
	v_add_f32_e32 v0, v140, v0
	v_add_f32_e32 v6, v141, v6
	v_add_f32_e32 v0, v147, v0
	v_add_f32_e32 v6, v148, v6
	v_add_f32_e32 v0, v166, v0
	v_add_f32_e32 v6, v167, v6
	v_add_f32_e32 v0, v1, v0
	v_add_f32_e32 v1, v173, v6
	ds_write2_b32 v3, v0, v1 offset0:34 offset1:51
	v_add_f32_e32 v0, v126, v56
	v_add_f32_e32 v1, v126, v57
	v_add_f32_e32 v0, v86, v0
	v_add_f32_e32 v1, v87, v1
	v_add_f32_e32 v0, v107, v0
	v_add_f32_e32 v1, v108, v1
	v_add_f32_e32 v0, v114, v0
	v_add_f32_e32 v1, v115, v1
	v_add_f32_e32 v0, v142, v0
	v_add_f32_e32 v1, v143, v1
	v_add_f32_e32 v0, v149, v0
	v_add_f32_e32 v1, v150, v1
	v_add_f32_e32 v0, v168, v0
	v_add_f32_e32 v1, v169, v1
	v_add_f32_e32 v0, v174, v0
	v_add_f32_e32 v1, v175, v1
	ds_write2_b32 v3, v0, v1 offset0:68 offset1:85
	;; [unrolled: 17-line block ×7, first 2 shown]
	v_add_f32_e32 v0, v5, v9
	v_add_f32_e32 v0, v4, v0
	ds_write_b32 v3, v0 offset:1088
	s_waitcnt lgkmcnt(0)
	s_barrier
	ds_read2_b32 v[52:53], v125 offset0:33 offset1:67
	ds_read2_b32 v[18:19], v125 offset0:101 offset1:135
	;; [unrolled: 1-line block ×4, first 2 shown]
	ds_read_b32 v54, v45
	ds_read_b32 v56, v47
	;; [unrolled: 1-line block ×8, first 2 shown]
                                        ; implicit-def: $vgpr2
	s_and_saveexec_b64 s[2:3], s[0:1]
	s_cbranch_execz .LBB0_14
; %bb.13:
	ds_read_b32 v0, v39
	ds_read_b32 v2, v41 offset:2244
.LBB0_14:
	s_or_b64 exec, exec, s[2:3]
	v_add_f32_e32 v1, v82, v77
	v_pk_add_f32 v[74:75], v[74:75], v[78:79] neg_lo:[0,1] neg_hi:[0,1]
	v_add_f32_e32 v1, v1, v76
	v_pk_add_f32 v[76:77], v[76:77], v[64:65]
	v_mul_f32_e32 v7, 0xbeb8f4ab, v75
	v_mul_f32_e32 v13, 0xbf2c7751, v75
	;; [unrolled: 1-line block ×8, first 2 shown]
	v_fmamk_f32 v9, v77, 0x3f6eb680, v7
	v_fma_f32 v7, v77, s19, -v7
	v_fmamk_f32 v15, v77, 0x3f3d2fb0, v13
	v_fma_f32 v13, v77, s20, -v13
	v_fmamk_f32 v21, v77, 0x3ee437d1, v17
	v_fma_f32 v17, v77, s6, -v17
	v_fmamk_f32 v51, v77, 0x3dbcf732, v37
	v_fma_f32 v37, v77, s16, -v37
	v_fmamk_f32 v57, v77, 0xbe8c1d8e, v55
	v_fma_f32 v55, v77, s12, -v55
	v_fmamk_f32 v79, v77, 0xbf1a4643, v78
	v_fma_f32 v78, v77, s14, -v78
	v_fmamk_f32 v81, v77, 0xbf59a7d5, v80
	v_fma_f32 v80, v77, s11, -v80
	v_fmamk_f32 v83, v77, 0xbf7ba420, v75
	v_fma_f32 v75, v77, s22, -v75
	v_mul_f32_e32 v77, 0xbf2c7751, v74
	v_add_f32_e32 v9, v82, v9
	v_add_f32_e32 v7, v82, v7
	;; [unrolled: 1-line block ×16, first 2 shown]
	v_fmamk_f32 v82, v76, 0x3f3d2fb0, v77
	v_fma_f32 v77, v76, s20, -v77
	v_add_f32_e32 v7, v77, v7
	v_mul_f32_e32 v77, 0xbf7ee86f, v74
	v_add_f32_e32 v9, v82, v9
	v_fmamk_f32 v82, v76, 0x3dbcf732, v77
	v_fma_f32 v77, v76, s16, -v77
	v_add_f32_e32 v1, v1, v71
	v_pk_add_f32 v[68:69], v[68:69], v[72:73] neg_lo:[0,1] neg_hi:[0,1]
	v_add_f32_e32 v13, v77, v13
	v_mul_f32_e32 v77, 0xbf4c4adb, v74
	v_add_f32_e32 v1, v1, v70
	v_pk_add_f32 v[70:71], v[70:71], v[60:61]
	v_mul_f32_e32 v72, 0xbf65296c, v69
	v_add_f32_e32 v15, v82, v15
	v_fmamk_f32 v82, v76, 0xbf1a4643, v77
	v_fma_f32 v77, v76, s14, -v77
	v_fmamk_f32 v73, v71, 0x3ee437d1, v72
	v_fma_f32 v72, v71, s6, -v72
	v_add_f32_e32 v17, v77, v17
	v_mul_f32_e32 v77, 0xbe3c28d5, v74
	v_add_f32_e32 v7, v72, v7
	v_mul_f32_e32 v72, 0xbf4c4adb, v69
	v_add_f32_e32 v21, v82, v21
	v_fmamk_f32 v82, v76, 0xbf7ba420, v77
	v_fma_f32 v77, v76, s22, -v77
	v_add_f32_e32 v9, v73, v9
	v_fmamk_f32 v73, v71, 0xbf1a4643, v72
	v_fma_f32 v72, v71, s14, -v72
	v_add_f32_e32 v37, v77, v37
	v_mul_f32_e32 v77, 0x3f06c442, v74
	v_add_f32_e32 v13, v72, v13
	v_mul_f32_e32 v72, 0x3e3c28d5, v69
	v_add_f32_e32 v51, v82, v51
	v_fmamk_f32 v82, v76, 0xbf59a7d5, v77
	v_fma_f32 v77, v76, s11, -v77
	v_add_f32_e32 v15, v73, v15
	;; [unrolled: 10-line block ×3, first 2 shown]
	v_fmamk_f32 v73, v71, 0xbe8c1d8e, v72
	v_fma_f32 v72, v71, s12, -v72
	v_add_f32_e32 v77, v77, v78
	v_mul_f32_e32 v78, 0x3f65296c, v74
	v_add_f32_e32 v37, v72, v37
	v_mul_f32_e32 v72, 0x3f2c7751, v69
	v_add_f32_e32 v79, v82, v79
	v_fmamk_f32 v82, v76, 0x3ee437d1, v78
	v_fma_f32 v78, v76, s6, -v78
	v_mul_f32_e32 v74, 0x3eb8f4ab, v74
	v_add_f32_e32 v51, v73, v51
	v_fmamk_f32 v73, v71, 0x3f3d2fb0, v72
	v_fma_f32 v72, v71, s20, -v72
	v_add_f32_e32 v78, v78, v80
	v_fmamk_f32 v80, v76, 0x3f6eb680, v74
	v_fma_f32 v74, v76, s19, -v74
	v_add_f32_e32 v55, v72, v55
	v_mul_f32_e32 v72, 0xbeb8f4ab, v69
	v_add_f32_e32 v74, v74, v75
	v_add_f32_e32 v57, v73, v57
	v_fmamk_f32 v73, v71, 0x3f6eb680, v72
	v_fma_f32 v72, v71, s19, -v72
	v_mul_f32_e32 v75, 0xbf7ee86f, v69
	v_mul_f32_e32 v69, 0xbf06c442, v69
	v_add_f32_e32 v72, v72, v77
	v_fmamk_f32 v76, v71, 0x3dbcf732, v75
	v_fma_f32 v75, v71, s16, -v75
	v_fmamk_f32 v77, v71, 0xbf59a7d5, v69
	v_fma_f32 v69, v71, s11, -v69
	v_mul_f32_e32 v71, 0xbf7ee86f, v68
	v_add_f32_e32 v69, v69, v74
	v_fmamk_f32 v74, v70, 0x3dbcf732, v71
	v_fma_f32 v71, v70, s16, -v71
	v_add_f32_e32 v7, v71, v7
	v_mul_f32_e32 v71, 0xbe3c28d5, v68
	v_add_f32_e32 v9, v74, v9
	v_fmamk_f32 v74, v70, 0xbf7ba420, v71
	v_fma_f32 v71, v70, s22, -v71
	v_add_f32_e32 v1, v1, v63
	v_pk_add_f32 v[58:59], v[58:59], v[66:67] neg_lo:[0,1] neg_hi:[0,1]
	v_add_f32_e32 v13, v71, v13
	v_mul_f32_e32 v71, 0x3f763a35, v68
	v_add_f32_e32 v1, v1, v62
	v_pk_add_f32 v[62:63], v[62:63], v[22:23]
	v_mul_f32_e32 v66, 0xbf763a35, v59
	v_add_f32_e32 v15, v74, v15
	v_fmamk_f32 v74, v70, 0xbe8c1d8e, v71
	v_fma_f32 v71, v70, s12, -v71
	v_fmamk_f32 v67, v63, 0xbe8c1d8e, v66
	v_fma_f32 v66, v63, s12, -v66
	v_add_f32_e32 v17, v71, v17
	v_mul_f32_e32 v71, 0x3eb8f4ab, v68
	v_add_f32_e32 v7, v66, v7
	v_mul_f32_e32 v66, 0x3f06c442, v59
	v_add_f32_e32 v21, v74, v21
	v_fmamk_f32 v74, v70, 0x3f6eb680, v71
	v_fma_f32 v71, v70, s19, -v71
	v_add_f32_e32 v9, v67, v9
	v_fmamk_f32 v67, v63, 0xbf59a7d5, v66
	v_fma_f32 v66, v63, s11, -v66
	v_add_f32_e32 v37, v71, v37
	v_mul_f32_e32 v71, 0xbf65296c, v68
	v_add_f32_e32 v13, v66, v13
	v_mul_f32_e32 v66, 0x3f2c7751, v59
	v_add_f32_e32 v51, v74, v51
	v_fmamk_f32 v74, v70, 0x3ee437d1, v71
	v_fma_f32 v71, v70, s6, -v71
	v_add_f32_e32 v15, v67, v15
	;; [unrolled: 10-line block ×3, first 2 shown]
	v_fmamk_f32 v67, v63, 0x3ee437d1, v66
	v_fma_f32 v66, v63, s6, -v66
	v_add_f32_e32 v73, v73, v79
	v_add_f32_e32 v71, v71, v72
	v_mul_f32_e32 v72, 0x3f4c4adb, v68
	v_add_f32_e32 v37, v66, v37
	v_mul_f32_e32 v66, 0xbe3c28d5, v59
	v_add_f32_e32 v75, v75, v78
	v_add_f32_e32 v73, v74, v73
	v_fmamk_f32 v74, v70, 0xbf1a4643, v72
	v_fma_f32 v72, v70, s14, -v72
	v_mul_f32_e32 v68, 0x3f2c7751, v68
	v_add_f32_e32 v51, v67, v51
	v_fmamk_f32 v67, v63, 0xbf7ba420, v66
	v_fma_f32 v66, v63, s22, -v66
	v_add_f32_e32 v72, v72, v75
	v_fmamk_f32 v75, v70, 0x3f3d2fb0, v68
	v_fma_f32 v68, v70, s20, -v68
	v_add_f32_e32 v55, v66, v55
	v_mul_f32_e32 v66, 0x3f7ee86f, v59
	v_add_f32_e32 v68, v68, v69
	v_add_f32_e32 v57, v67, v57
	v_fmamk_f32 v67, v63, 0x3dbcf732, v66
	v_fma_f32 v66, v63, s16, -v66
	v_mul_f32_e32 v69, 0xbeb8f4ab, v59
	v_mul_f32_e32 v59, 0xbf4c4adb, v59
	v_add_f32_e32 v66, v66, v71
	v_fmamk_f32 v70, v63, 0x3f6eb680, v69
	v_fma_f32 v69, v63, s19, -v69
	v_fmamk_f32 v71, v63, 0xbf1a4643, v59
	v_fma_f32 v59, v63, s14, -v59
	v_mul_f32_e32 v63, 0xbf4c4adb, v58
	v_add_f32_e32 v59, v59, v68
	v_fmamk_f32 v68, v62, 0xbf1a4643, v63
	v_fma_f32 v63, v62, s14, -v63
	v_add_f32_e32 v7, v63, v7
	v_mul_f32_e32 v63, 0x3f763a35, v58
	v_add_f32_e32 v9, v68, v9
	v_fmamk_f32 v68, v62, 0xbe8c1d8e, v63
	v_fma_f32 v63, v62, s12, -v63
	v_add_f32_e32 v13, v63, v13
	;; [unrolled: 5-line block ×3, first 2 shown]
	v_mul_f32_e32 v63, 0xbf06c442, v58
	v_add_f32_e32 v1, v1, v27
	v_add_f32_e32 v21, v68, v21
	v_fmamk_f32 v68, v62, 0xbf59a7d5, v63
	v_fma_f32 v63, v62, s11, -v63
	v_add_f32_e32 v1, v1, v26
	v_add_f32_e32 v37, v63, v37
	v_mul_f32_e32 v63, 0x3f7ee86f, v58
	v_add_f32_e32 v1, v1, v30
	v_add_f32_e32 v51, v68, v51
	v_fmamk_f32 v68, v62, 0x3dbcf732, v63
	v_fma_f32 v63, v62, s16, -v63
	v_add_f32_e32 v1, v1, v31
	v_add_f32_e32 v55, v63, v55
	v_mul_f32_e32 v63, 0xbf2c7751, v58
	v_add_f32_e32 v1, v1, v22
	v_add_f32_e32 v57, v68, v57
	v_fmamk_f32 v68, v62, 0x3f3d2fb0, v63
	v_fma_f32 v63, v62, s20, -v63
	v_add_f32_e32 v1, v1, v23
	v_add_f32_e32 v67, v67, v73
	v_add_f32_e32 v63, v63, v66
	v_mul_f32_e32 v66, 0xbe3c28d5, v58
	v_add_f32_e32 v1, v1, v60
	v_add_f32_e32 v69, v69, v72
	;; [unrolled: 1-line block ×3, first 2 shown]
	v_fmamk_f32 v68, v62, 0xbf7ba420, v66
	v_fma_f32 v66, v62, s22, -v66
	v_mul_f32_e32 v58, 0x3f65296c, v58
	v_add_f32_e32 v1, v1, v61
	v_add_f32_e32 v66, v66, v69
	v_fmamk_f32 v69, v62, 0x3ee437d1, v58
	v_fma_f32 v58, v62, s6, -v58
	v_add_f32_e32 v1, v1, v64
	v_pk_add_f32 v[24:25], v[24:25], v[28:29] neg_lo:[0,1] neg_hi:[0,1]
	v_add_f32_e32 v58, v58, v59
	v_add_f32_e32 v59, v1, v65
	v_pk_add_f32 v[22:23], v[26:27], v[30:31]
	v_mul_f32_e32 v1, 0xbf06c442, v25
	v_fmamk_f32 v26, v23, 0xbf59a7d5, v1
	v_fma_f32 v1, v23, s11, -v1
	v_add_f32_e32 v1, v1, v7
	v_mul_f32_e32 v7, 0x3f65296c, v25
	v_add_f32_e32 v9, v26, v9
	v_fmamk_f32 v26, v23, 0x3ee437d1, v7
	v_fma_f32 v7, v23, s6, -v7
	v_add_f32_e32 v7, v7, v13
	v_mul_f32_e32 v13, 0xbf7ee86f, v25
	v_add_f32_e32 v15, v26, v15
	;; [unrolled: 5-line block ×3, first 2 shown]
	v_fmamk_f32 v26, v23, 0xbf1a4643, v17
	v_fma_f32 v17, v23, s14, -v17
	v_mul_f32_e32 v27, 0xbeb8f4ab, v25
	v_mul_f32_e32 v29, 0xbe3c28d5, v25
	v_mul_f32_e32 v31, 0x3f2c7751, v25
	v_mul_f32_e32 v25, 0xbf763a35, v25
	v_add_f32_e32 v26, v26, v51
	v_add_f32_e32 v17, v17, v37
	v_fmamk_f32 v28, v23, 0x3f6eb680, v27
	v_fma_f32 v27, v23, s19, -v27
	v_fmamk_f32 v30, v23, 0xbf7ba420, v29
	v_fma_f32 v29, v23, s22, -v29
	;; [unrolled: 2-line block ×4, first 2 shown]
	v_mul_f32_e32 v25, 0xbe3c28d5, v24
	v_add_f32_e32 v27, v27, v55
	v_fmamk_f32 v55, v22, 0xbf7ba420, v25
	v_fma_f32 v25, v22, s22, -v25
	v_add_f32_e32 v1, v25, v1
	v_mul_f32_e32 v25, 0x3eb8f4ab, v24
	v_add_f32_e32 v9, v55, v9
	v_fmamk_f32 v55, v22, 0x3f6eb680, v25
	v_fma_f32 v25, v22, s19, -v25
	v_add_f32_e32 v7, v25, v7
	;; [unrolled: 5-line block ×4, first 2 shown]
	v_mul_f32_e32 v25, 0xbf4c4adb, v24
	v_add_f32_e32 v80, v80, v83
	v_add_f32_e32 v26, v55, v26
	v_fmamk_f32 v55, v22, 0xbf1a4643, v25
	v_fma_f32 v25, v22, s14, -v25
	v_add_f32_e32 v81, v82, v81
	v_add_f32_e32 v77, v77, v80
	;; [unrolled: 1-line block ×4, first 2 shown]
	v_mul_f32_e32 v27, 0x3f65296c, v24
	v_add_f32_e32 v76, v76, v81
	v_add_f32_e32 v75, v75, v77
	;; [unrolled: 1-line block ×4, first 2 shown]
	v_fmamk_f32 v55, v22, 0x3ee437d1, v27
	v_fma_f32 v27, v22, s6, -v27
	v_add_f32_e32 v74, v74, v76
	v_add_f32_e32 v71, v71, v75
	;; [unrolled: 1-line block ×4, first 2 shown]
	v_mul_f32_e32 v29, 0xbf763a35, v24
	v_add_f32_e32 v70, v70, v74
	v_add_f32_e32 v69, v69, v71
	;; [unrolled: 1-line block ×4, first 2 shown]
	v_fmamk_f32 v55, v22, 0xbe8c1d8e, v29
	v_fma_f32 v29, v22, s12, -v29
	v_mul_f32_e32 v24, 0x3f7ee86f, v24
	v_add_f32_e32 v68, v68, v70
	v_add_f32_e32 v51, v51, v69
	v_add_f32_e32 v29, v29, v31
	v_fmamk_f32 v31, v22, 0x3dbcf732, v24
	v_add_f32_e32 v37, v37, v68
	v_add_f32_e32 v23, v23, v58
	;; [unrolled: 1-line block ×3, first 2 shown]
	v_fma_f32 v22, v22, s16, -v24
	v_add_f32_e32 v37, v55, v37
	v_add_f32_e32 v22, v22, v23
	s_waitcnt lgkmcnt(0)
	s_barrier
	ds_write2_b32 v3, v59, v9 offset1:17
	ds_write2_b32 v3, v15, v21 offset0:34 offset1:51
	ds_write2_b32 v3, v26, v28 offset0:68 offset1:85
	ds_write2_b32 v3, v30, v37 offset0:102 offset1:119
	ds_write2_b32 v3, v31, v22 offset0:136 offset1:153
	ds_write2_b32 v3, v29, v27 offset0:170 offset1:187
	ds_write2_b32 v3, v25, v17 offset0:204 offset1:221
	ds_write2_b32 v3, v13, v7 offset0:238 offset1:255
	ds_write_b32 v3, v1 offset:1088
	s_waitcnt lgkmcnt(0)
	s_barrier
	ds_read2_b32 v[30:31], v125 offset0:33 offset1:67
	ds_read2_b32 v[28:29], v125 offset0:101 offset1:135
	;; [unrolled: 1-line block ×4, first 2 shown]
	ds_read_b32 v55, v45
	ds_read_b32 v57, v47
	;; [unrolled: 1-line block ×8, first 2 shown]
                                        ; implicit-def: $vgpr22
	s_and_saveexec_b64 s[2:3], s[0:1]
	s_cbranch_execz .LBB0_16
; %bb.15:
	ds_read_b32 v1, v39
	ds_read_b32 v22, v41 offset:2244
	v_mov_b32_e32 v50, v33
.LBB0_16:
	s_or_b64 exec, exec, s[2:3]
	s_and_saveexec_b64 s[2:3], vcc
	s_cbranch_execz .LBB0_19
; %bb.17:
	v_mov_b32_e32 v37, 0
	v_mov_b32_e32 v33, v37
	;; [unrolled: 1-line block ×4, first 2 shown]
	v_lshl_add_u64 v[58:59], v[32:33], 3, s[4:5]
	v_lshl_add_u64 v[46:47], v[46:47], 3, s[4:5]
	;; [unrolled: 1-line block ×3, first 2 shown]
	global_load_dwordx2 v[60:61], v[58:59], off offset:2176
	global_load_dwordx2 v[62:63], v[48:49], off offset:2176
	;; [unrolled: 1-line block ×3, first 2 shown]
	v_mov_b32_e32 v43, v37
	v_lshl_add_u64 v[42:43], v[42:43], 3, s[4:5]
	global_load_dwordx2 v[42:43], v[42:43], off offset:2176
	v_mov_b32_e32 v39, v37
	v_lshl_add_u64 v[38:39], v[38:39], 3, s[4:5]
	global_load_dwordx2 v[38:39], v[38:39], off offset:2176
	v_mad_u64_u32 v[46:47], s[2:3], s8, v32, 0
	v_add_u32_e32 v3, 0x121, v32
	v_lshl_add_u64 v[70:71], v[36:37], 3, s[4:5]
	v_mov_b32_e32 v36, v47
	v_mad_u64_u32 v[72:73], s[6:7], s8, v3, 0
	v_mad_u64_u32 v[82:83], s[6:7], s9, v32, v[36:37]
	v_mov_b32_e32 v36, v73
	v_mad_u64_u32 v[48:49], s[6:7], s8, v154, 0
	v_add_u32_e32 v23, 0x143, v32
	s_waitcnt lgkmcnt(11)
	v_mov_b32_e32 v68, v31
	v_mov_b32_e32 v47, v82
	v_mad_u64_u32 v[82:83], s[6:7], s9, v3, v[36:37]
	v_mov_b32_e32 v58, v53
	v_mov_b32_e32 v66, v53
	v_add_u32_e32 v33, 0x44, v32
	v_add_u32_e32 v51, 0x165, v32
	v_mov_b32_e32 v74, v49
	v_mad_u64_u32 v[76:77], s[6:7], s8, v23, 0
	v_mov_b32_e32 v73, v82
	v_mad_u64_u32 v[78:79], s[6:7], s8, v33, 0
	v_mad_u64_u32 v[80:81], s[6:7], s8, v51, 0
	;; [unrolled: 1-line block ×3, first 2 shown]
	v_mov_b32_e32 v84, v77
	v_mov_b32_e32 v86, v79
	;; [unrolled: 1-line block ×4, first 2 shown]
	v_mad_u64_u32 v[74:75], s[6:7], s9, v23, v[84:85]
	v_mov_b32_e32 v41, v37
	v_mad_u64_u32 v[84:85], s[6:7], s9, v33, v[86:87]
	v_mad_u64_u32 v[86:87], s[6:7], s9, v51, v[88:89]
	v_lshl_add_u64 v[46:47], v[46:47], 3, v[34:35]
	v_mov_b32_e32 v77, v74
	v_lshl_add_u64 v[40:41], v[40:41], 3, s[4:5]
	v_lshl_add_u64 v[48:49], v[48:49], 3, v[34:35]
	v_mov_b32_e32 v79, v84
	v_mov_b32_e32 v81, v86
	v_lshl_add_u64 v[72:73], v[72:73], 3, v[34:35]
	v_lshl_add_u64 v[74:75], v[76:77], 3, v[34:35]
	;; [unrolled: 1-line block ×4, first 2 shown]
	v_add_u32_e32 v3, 0x66, v32
	s_waitcnt lgkmcnt(10)
	v_mov_b32_e32 v36, v29
	v_mov_b32_e32 v45, v37
	v_lshl_add_u64 v[44:45], v[44:45], 3, s[4:5]
	s_mov_b32 s3, 0xe2c4a689
	s_movk_i32 s2, 0x121
	s_waitcnt vmcnt(4)
	v_pk_mul_f32 v[30:31], v[30:31], v[60:61] op_sel:[0,1] op_sel_hi:[0,0]
	s_waitcnt vmcnt(3)
	v_pk_mul_f32 v[68:69], v[68:69], v[62:63] op_sel:[0,1] op_sel_hi:[0,0]
	v_pk_fma_f32 v[82:83], v[52:53], v[60:61], v[30:31] neg_lo:[0,0,1] neg_hi:[0,0,1]
	v_pk_fma_f32 v[30:31], v[52:53], v[60:61], v[30:31] op_sel_hi:[0,1,1]
	v_pk_fma_f32 v[52:53], v[58:59], v[62:63], v[68:69] neg_lo:[0,0,1] neg_hi:[0,0,1]
	v_pk_fma_f32 v[58:59], v[66:67], v[62:63], v[68:69] op_sel_hi:[0,1,1]
	v_mov_b32_e32 v83, v31
	v_mov_b32_e32 v53, v59
	s_waitcnt lgkmcnt(7)
	v_pk_add_f32 v[30:31], v[54:55], v[82:83] neg_lo:[0,1] neg_hi:[0,1]
	s_waitcnt lgkmcnt(6)
	v_pk_add_f32 v[52:53], v[56:57], v[52:53] neg_lo:[0,1] neg_hi:[0,1]
	v_pk_fma_f32 v[54:55], v[54:55], 2.0, v[30:31] op_sel_hi:[1,0,1] neg_lo:[0,0,1] neg_hi:[0,0,1]
	v_pk_fma_f32 v[56:57], v[56:57], 2.0, v[52:53] op_sel_hi:[1,0,1] neg_lo:[0,0,1] neg_hi:[0,0,1]
	global_store_dwordx2 v[46:47], v[54:55], off
	global_store_dwordx2 v[72:73], v[30:31], off
	;; [unrolled: 1-line block ×4, first 2 shown]
	s_waitcnt vmcnt(6)
	v_pk_mul_f32 v[80:81], v[28:29], v[64:65] op_sel:[0,1] op_sel_hi:[0,0]
	global_load_dwordx2 v[30:31], v[40:41], off offset:2176
	v_pk_fma_f32 v[40:41], v[18:19], v[64:65], v[80:81] neg_lo:[0,0,1] neg_hi:[0,0,1]
	v_pk_fma_f32 v[46:47], v[18:19], v[64:65], v[80:81] op_sel_hi:[0,1,1]
	v_mov_b32_e32 v41, v47
	s_waitcnt lgkmcnt(5)
	v_pk_add_f32 v[40:41], v[20:21], v[40:41] neg_lo:[0,1] neg_hi:[0,1]
	v_mov_b32_e32 v28, v19
	v_pk_fma_f32 v[20:21], v[20:21], 2.0, v[40:41] op_sel_hi:[1,0,1] neg_lo:[0,0,1] neg_hi:[0,0,1]
	global_store_dwordx2 v[76:77], v[20:21], off
	global_store_dwordx2 v[78:79], v[40:41], off
	v_mad_u64_u32 v[20:21], s[6:7], s8, v3, 0
	v_mov_b32_e32 v18, v21
	v_mad_u64_u32 v[40:41], s[6:7], s9, v3, v[18:19]
	v_add_u32_e32 v3, 0x187, v32
	v_mov_b32_e32 v21, v40
	v_mad_u64_u32 v[40:41], s[6:7], s8, v3, 0
	v_mov_b32_e32 v18, v41
	v_mad_u64_u32 v[46:47], s[6:7], s9, v3, v[18:19]
	v_mov_b32_e32 v41, v46
	v_mov_b32_e32 v18, v19
	s_waitcnt vmcnt(8)
	v_pk_mul_f32 v[46:47], v[36:37], v[42:43] op_sel:[0,1] op_sel_hi:[0,0]
	v_pk_fma_f32 v[18:19], v[18:19], v[42:43], v[46:47] neg_lo:[0,0,1] neg_hi:[0,0,1]
	v_pk_fma_f32 v[28:29], v[28:29], v[42:43], v[46:47] op_sel_hi:[0,1,1]
	v_mov_b32_e32 v19, v29
	global_load_dwordx2 v[44:45], v[44:45], off offset:2176
	s_waitcnt lgkmcnt(4)
	v_pk_add_f32 v[18:19], v[16:17], v[18:19] neg_lo:[0,1] neg_hi:[0,1]
	v_lshl_add_u64 v[20:21], v[20:21], 3, v[34:35]
	v_pk_fma_f32 v[16:17], v[16:17], 2.0, v[18:19] op_sel_hi:[1,0,1] neg_lo:[0,0,1] neg_hi:[0,0,1]
	v_add_u32_e32 v3, 0x88, v32
	v_lshl_add_u64 v[40:41], v[40:41], 3, v[34:35]
	global_store_dwordx2 v[20:21], v[16:17], off
	global_store_dwordx2 v[40:41], v[18:19], off
	v_mad_u64_u32 v[16:17], s[6:7], s8, v3, 0
	v_mov_b32_e32 v18, v17
	v_mad_u64_u32 v[18:19], s[6:7], s9, v3, v[18:19]
	v_add_u32_e32 v3, 0x1a9, v32
	v_mov_b32_e32 v17, v18
	v_mad_u64_u32 v[18:19], s[6:7], s8, v3, 0
	v_mov_b32_e32 v20, v19
	v_mad_u64_u32 v[20:21], s[6:7], s9, v3, v[20:21]
	v_mov_b32_e32 v19, v20
	s_waitcnt vmcnt(10)
	v_pk_mul_f32 v[20:21], v[26:27], v[38:39] op_sel:[0,1] op_sel_hi:[0,0]
	v_pk_fma_f32 v[28:29], v[10:11], v[38:39], v[20:21] neg_lo:[0,0,1] neg_hi:[0,0,1]
	v_pk_fma_f32 v[20:21], v[10:11], v[38:39], v[20:21] op_sel_hi:[0,1,1]
	v_mov_b32_e32 v29, v21
	s_waitcnt lgkmcnt(3)
	v_pk_add_f32 v[20:21], v[14:15], v[28:29] neg_lo:[0,1] neg_hi:[0,1]
	global_load_dwordx2 v[28:29], v[70:71], off offset:2176
	v_lshl_add_u64 v[16:17], v[16:17], 3, v[34:35]
	v_pk_fma_f32 v[14:15], v[14:15], 2.0, v[20:21] op_sel_hi:[1,0,1] neg_lo:[0,0,1] neg_hi:[0,0,1]
	v_add_u32_e32 v3, 0xaa, v32
	v_lshl_add_u64 v[18:19], v[18:19], 3, v[34:35]
	global_store_dwordx2 v[16:17], v[14:15], off
	global_store_dwordx2 v[18:19], v[20:21], off
	v_mad_u64_u32 v[14:15], s[6:7], s8, v3, 0
	v_mov_b32_e32 v10, v15
	v_mad_u64_u32 v[16:17], s[6:7], s9, v3, v[10:11]
	v_add_u32_e32 v3, 0x1cb, v32
	v_mov_b32_e32 v15, v16
	v_mad_u64_u32 v[16:17], s[6:7], s8, v3, 0
	v_mov_b32_e32 v10, v17
	v_mad_u64_u32 v[18:19], s[6:7], s9, v3, v[10:11]
	v_mov_b32_e32 v20, v27
	v_mov_b32_e32 v17, v18
	;; [unrolled: 1-line block ×4, first 2 shown]
	v_lshl_add_u64 v[14:15], v[14:15], 3, v[34:35]
	v_add_u32_e32 v3, 0xcc, v32
	v_lshl_add_u64 v[16:17], v[16:17], 3, v[34:35]
	s_waitcnt vmcnt(8)
	v_pk_mul_f32 v[20:21], v[20:21], v[30:31] op_sel:[0,1] op_sel_hi:[0,0]
	v_pk_fma_f32 v[10:11], v[10:11], v[30:31], v[20:21] neg_lo:[0,0,1] neg_hi:[0,0,1]
	v_pk_fma_f32 v[18:19], v[18:19], v[30:31], v[20:21] op_sel_hi:[0,1,1]
	v_mov_b32_e32 v11, v19
	s_waitcnt lgkmcnt(2)
	v_pk_add_f32 v[10:11], v[12:13], v[10:11] neg_lo:[0,1] neg_hi:[0,1]
	s_nop 0
	v_pk_fma_f32 v[12:13], v[12:13], 2.0, v[10:11] op_sel_hi:[1,0,1] neg_lo:[0,0,1] neg_hi:[0,0,1]
	global_store_dwordx2 v[14:15], v[12:13], off
	global_store_dwordx2 v[16:17], v[10:11], off
	v_mul_hi_u32 v10, v3, s3
	v_lshrrev_b32_e32 v10, 8, v10
	v_mad_u32_u24 v3, v10, s2, v3
	v_mad_u64_u32 v[10:11], s[6:7], s8, v3, 0
	v_mov_b32_e32 v12, v11
	v_mad_u64_u32 v[12:13], s[6:7], s9, v3, v[12:13]
	v_add_u32_e32 v3, 0x121, v3
	v_mov_b32_e32 v11, v12
	v_mad_u64_u32 v[12:13], s[6:7], s8, v3, 0
	v_mov_b32_e32 v14, v13
	v_mad_u64_u32 v[14:15], s[6:7], s9, v3, v[14:15]
	v_mov_b32_e32 v13, v14
	v_add_u32_e32 v3, 0xee, v32
	v_lshl_add_u64 v[10:11], v[10:11], 3, v[34:35]
	s_waitcnt vmcnt(7)
	v_pk_mul_f32 v[14:15], v[24:25], v[44:45] op_sel:[0,1] op_sel_hi:[0,0]
	v_pk_fma_f32 v[16:17], v[4:5], v[44:45], v[14:15] neg_lo:[0,0,1] neg_hi:[0,0,1]
	v_pk_fma_f32 v[14:15], v[4:5], v[44:45], v[14:15] op_sel_hi:[0,1,1]
	v_mov_b32_e32 v17, v15
	v_mul_hi_u32 v4, v3, s3
	s_waitcnt lgkmcnt(1)
	v_pk_add_f32 v[14:15], v[8:9], v[16:17] neg_lo:[0,1] neg_hi:[0,1]
	v_lshrrev_b32_e32 v4, 8, v4
	v_pk_fma_f32 v[8:9], v[8:9], 2.0, v[14:15] op_sel_hi:[1,0,1] neg_lo:[0,0,1] neg_hi:[0,0,1]
	v_mad_u32_u24 v3, v4, s2, v3
	v_lshl_add_u64 v[12:13], v[12:13], 3, v[34:35]
	global_store_dwordx2 v[10:11], v[8:9], off
	global_store_dwordx2 v[12:13], v[14:15], off
	v_mad_u64_u32 v[8:9], s[2:3], s8, v3, 0
	v_mov_b32_e32 v4, v9
	v_mad_u64_u32 v[10:11], s[2:3], s9, v3, v[4:5]
	v_add_u32_e32 v3, 0x121, v3
	v_mov_b32_e32 v9, v10
	v_mad_u64_u32 v[10:11], s[2:3], s8, v3, 0
	v_mov_b32_e32 v4, v11
	v_mad_u64_u32 v[12:13], s[2:3], s9, v3, v[4:5]
	v_mov_b32_e32 v14, v25
	v_mov_b32_e32 v11, v12
	;; [unrolled: 1-line block ×4, first 2 shown]
	s_waitcnt vmcnt(6)
	v_pk_mul_f32 v[14:15], v[14:15], v[28:29] op_sel:[0,1] op_sel_hi:[0,0]
	v_pk_fma_f32 v[4:5], v[4:5], v[28:29], v[14:15] neg_lo:[0,0,1] neg_hi:[0,0,1]
	v_pk_fma_f32 v[12:13], v[12:13], v[28:29], v[14:15] op_sel_hi:[0,1,1]
	v_mov_b32_e32 v5, v13
	s_waitcnt lgkmcnt(0)
	v_pk_add_f32 v[4:5], v[6:7], v[4:5] neg_lo:[0,1] neg_hi:[0,1]
	v_lshl_add_u64 v[8:9], v[8:9], 3, v[34:35]
	v_pk_fma_f32 v[6:7], v[6:7], 2.0, v[4:5] op_sel_hi:[1,0,1] neg_lo:[0,0,1] neg_hi:[0,0,1]
	v_lshl_add_u64 v[10:11], v[10:11], 3, v[34:35]
	global_store_dwordx2 v[8:9], v[6:7], off
	global_store_dwordx2 v[10:11], v[4:5], off
	s_and_b64 exec, exec, s[0:1]
	s_cbranch_execz .LBB0_19
; %bb.18:
	v_mov_b32_e32 v51, v37
	v_lshl_add_u64 v[4:5], v[50:51], 3, s[4:5]
	global_load_dwordx2 v[4:5], v[4:5], off offset:2176
	v_add_u32_e32 v3, 0x110, v32
	v_add_u32_e32 v13, 0x231, v32
	v_mad_u64_u32 v[6:7], s[0:1], s8, v3, 0
	v_mad_u64_u32 v[8:9], s[0:1], s8, v13, 0
	v_mov_b32_e32 v10, v7
	v_mov_b32_e32 v12, v9
	v_mad_u64_u32 v[10:11], s[0:1], s9, v3, v[10:11]
	v_mad_u64_u32 v[12:13], s[0:1], s9, v13, v[12:13]
	v_mov_b32_e32 v7, v10
	v_mov_b32_e32 v9, v12
	v_lshl_add_u64 v[6:7], v[6:7], 3, v[34:35]
	v_lshl_add_u64 v[8:9], v[8:9], 3, v[34:35]
	s_waitcnt vmcnt(0)
	v_pk_mul_f32 v[10:11], v[22:23], v[4:5] op_sel_hi:[0,1]
	v_pk_fma_f32 v[12:13], v[2:3], v[4:5], v[10:11] op_sel:[0,0,1] op_sel_hi:[1,1,0] neg_lo:[0,0,1] neg_hi:[0,0,1]
	v_pk_fma_f32 v[2:3], v[2:3], v[4:5], v[10:11] op_sel:[0,0,1] op_sel_hi:[0,1,0]
	v_mov_b32_e32 v13, v3
	v_pk_add_f32 v[2:3], v[0:1], v[12:13] neg_lo:[0,1] neg_hi:[0,1]
	s_nop 0
	v_pk_fma_f32 v[0:1], v[0:1], 2.0, v[2:3] op_sel_hi:[1,0,1] neg_lo:[0,0,1] neg_hi:[0,0,1]
	global_store_dwordx2 v[6:7], v[0:1], off
	global_store_dwordx2 v[8:9], v[2:3], off
.LBB0_19:
	s_endpgm
	.section	.rodata,"a",@progbits
	.p2align	6, 0x0
	.amdhsa_kernel fft_rtc_fwd_len578_factors_17_17_2_wgs_238_tpt_34_halfLds_sp_ip_CI_sbrr_dirReg
		.amdhsa_group_segment_fixed_size 0
		.amdhsa_private_segment_fixed_size 0
		.amdhsa_kernarg_size 88
		.amdhsa_user_sgpr_count 2
		.amdhsa_user_sgpr_dispatch_ptr 0
		.amdhsa_user_sgpr_queue_ptr 0
		.amdhsa_user_sgpr_kernarg_segment_ptr 1
		.amdhsa_user_sgpr_dispatch_id 0
		.amdhsa_user_sgpr_kernarg_preload_length 0
		.amdhsa_user_sgpr_kernarg_preload_offset 0
		.amdhsa_user_sgpr_private_segment_size 0
		.amdhsa_uses_dynamic_stack 0
		.amdhsa_enable_private_segment 0
		.amdhsa_system_sgpr_workgroup_id_x 1
		.amdhsa_system_sgpr_workgroup_id_y 0
		.amdhsa_system_sgpr_workgroup_id_z 0
		.amdhsa_system_sgpr_workgroup_info 0
		.amdhsa_system_vgpr_workitem_id 0
		.amdhsa_next_free_vgpr 194
		.amdhsa_next_free_sgpr 94
		.amdhsa_accum_offset 196
		.amdhsa_reserve_vcc 1
		.amdhsa_float_round_mode_32 0
		.amdhsa_float_round_mode_16_64 0
		.amdhsa_float_denorm_mode_32 3
		.amdhsa_float_denorm_mode_16_64 3
		.amdhsa_dx10_clamp 1
		.amdhsa_ieee_mode 1
		.amdhsa_fp16_overflow 0
		.amdhsa_tg_split 0
		.amdhsa_exception_fp_ieee_invalid_op 0
		.amdhsa_exception_fp_denorm_src 0
		.amdhsa_exception_fp_ieee_div_zero 0
		.amdhsa_exception_fp_ieee_overflow 0
		.amdhsa_exception_fp_ieee_underflow 0
		.amdhsa_exception_fp_ieee_inexact 0
		.amdhsa_exception_int_div_zero 0
	.end_amdhsa_kernel
	.text
.Lfunc_end0:
	.size	fft_rtc_fwd_len578_factors_17_17_2_wgs_238_tpt_34_halfLds_sp_ip_CI_sbrr_dirReg, .Lfunc_end0-fft_rtc_fwd_len578_factors_17_17_2_wgs_238_tpt_34_halfLds_sp_ip_CI_sbrr_dirReg
                                        ; -- End function
	.section	.AMDGPU.csdata,"",@progbits
; Kernel info:
; codeLenInByte = 13868
; NumSgprs: 100
; NumVgprs: 194
; NumAgprs: 0
; TotalNumVgprs: 194
; ScratchSize: 0
; MemoryBound: 0
; FloatMode: 240
; IeeeMode: 1
; LDSByteSize: 0 bytes/workgroup (compile time only)
; SGPRBlocks: 12
; VGPRBlocks: 24
; NumSGPRsForWavesPerEU: 100
; NumVGPRsForWavesPerEU: 194
; AccumOffset: 196
; Occupancy: 2
; WaveLimiterHint : 1
; COMPUTE_PGM_RSRC2:SCRATCH_EN: 0
; COMPUTE_PGM_RSRC2:USER_SGPR: 2
; COMPUTE_PGM_RSRC2:TRAP_HANDLER: 0
; COMPUTE_PGM_RSRC2:TGID_X_EN: 1
; COMPUTE_PGM_RSRC2:TGID_Y_EN: 0
; COMPUTE_PGM_RSRC2:TGID_Z_EN: 0
; COMPUTE_PGM_RSRC2:TIDIG_COMP_CNT: 0
; COMPUTE_PGM_RSRC3_GFX90A:ACCUM_OFFSET: 48
; COMPUTE_PGM_RSRC3_GFX90A:TG_SPLIT: 0
	.text
	.p2alignl 6, 3212836864
	.fill 256, 4, 3212836864
	.type	__hip_cuid_24633a65d6cdbdd2,@object ; @__hip_cuid_24633a65d6cdbdd2
	.section	.bss,"aw",@nobits
	.globl	__hip_cuid_24633a65d6cdbdd2
__hip_cuid_24633a65d6cdbdd2:
	.byte	0                               ; 0x0
	.size	__hip_cuid_24633a65d6cdbdd2, 1

	.ident	"AMD clang version 19.0.0git (https://github.com/RadeonOpenCompute/llvm-project roc-6.4.0 25133 c7fe45cf4b819c5991fe208aaa96edf142730f1d)"
	.section	".note.GNU-stack","",@progbits
	.addrsig
	.addrsig_sym __hip_cuid_24633a65d6cdbdd2
	.amdgpu_metadata
---
amdhsa.kernels:
  - .agpr_count:     0
    .args:
      - .actual_access:  read_only
        .address_space:  global
        .offset:         0
        .size:           8
        .value_kind:     global_buffer
      - .offset:         8
        .size:           8
        .value_kind:     by_value
      - .actual_access:  read_only
        .address_space:  global
        .offset:         16
        .size:           8
        .value_kind:     global_buffer
      - .actual_access:  read_only
        .address_space:  global
        .offset:         24
        .size:           8
        .value_kind:     global_buffer
      - .offset:         32
        .size:           8
        .value_kind:     by_value
      - .actual_access:  read_only
        .address_space:  global
        .offset:         40
        .size:           8
        .value_kind:     global_buffer
      - .actual_access:  read_only
        .address_space:  global
        .offset:         48
        .size:           8
        .value_kind:     global_buffer
      - .offset:         56
        .size:           4
        .value_kind:     by_value
      - .actual_access:  read_only
        .address_space:  global
        .offset:         64
        .size:           8
        .value_kind:     global_buffer
      - .actual_access:  read_only
        .address_space:  global
        .offset:         72
        .size:           8
        .value_kind:     global_buffer
      - .address_space:  global
        .offset:         80
        .size:           8
        .value_kind:     global_buffer
    .group_segment_fixed_size: 0
    .kernarg_segment_align: 8
    .kernarg_segment_size: 88
    .language:       OpenCL C
    .language_version:
      - 2
      - 0
    .max_flat_workgroup_size: 238
    .name:           fft_rtc_fwd_len578_factors_17_17_2_wgs_238_tpt_34_halfLds_sp_ip_CI_sbrr_dirReg
    .private_segment_fixed_size: 0
    .sgpr_count:     100
    .sgpr_spill_count: 0
    .symbol:         fft_rtc_fwd_len578_factors_17_17_2_wgs_238_tpt_34_halfLds_sp_ip_CI_sbrr_dirReg.kd
    .uniform_work_group_size: 1
    .uses_dynamic_stack: false
    .vgpr_count:     194
    .vgpr_spill_count: 0
    .wavefront_size: 64
amdhsa.target:   amdgcn-amd-amdhsa--gfx950
amdhsa.version:
  - 1
  - 2
...

	.end_amdgpu_metadata
